;; amdgpu-corpus repo=ROCm/rocFFT kind=compiled arch=gfx906 opt=O3
	.text
	.amdgcn_target "amdgcn-amd-amdhsa--gfx906"
	.amdhsa_code_object_version 6
	.protected	fft_rtc_fwd_len2430_factors_10_3_3_3_3_3_wgs_81_tpt_81_halfLds_sp_ip_CI_sbrr_dirReg ; -- Begin function fft_rtc_fwd_len2430_factors_10_3_3_3_3_3_wgs_81_tpt_81_halfLds_sp_ip_CI_sbrr_dirReg
	.globl	fft_rtc_fwd_len2430_factors_10_3_3_3_3_3_wgs_81_tpt_81_halfLds_sp_ip_CI_sbrr_dirReg
	.p2align	8
	.type	fft_rtc_fwd_len2430_factors_10_3_3_3_3_3_wgs_81_tpt_81_halfLds_sp_ip_CI_sbrr_dirReg,@function
fft_rtc_fwd_len2430_factors_10_3_3_3_3_3_wgs_81_tpt_81_halfLds_sp_ip_CI_sbrr_dirReg: ; @fft_rtc_fwd_len2430_factors_10_3_3_3_3_3_wgs_81_tpt_81_halfLds_sp_ip_CI_sbrr_dirReg
; %bb.0:
	s_load_dwordx2 s[14:15], s[4:5], 0x18
	s_load_dwordx4 s[8:11], s[4:5], 0x0
	s_load_dwordx2 s[12:13], s[4:5], 0x50
	v_mul_u32_u24_e32 v1, 0x32a, v0
	v_add_u32_sdwa v5, s6, v1 dst_sel:DWORD dst_unused:UNUSED_PAD src0_sel:DWORD src1_sel:WORD_1
	s_waitcnt lgkmcnt(0)
	s_load_dwordx2 s[2:3], s[14:15], 0x0
	v_cmp_lt_u64_e64 s[0:1], s[10:11], 2
	v_mov_b32_e32 v3, 0
	v_mov_b32_e32 v1, 0
	;; [unrolled: 1-line block ×3, first 2 shown]
	s_and_b64 vcc, exec, s[0:1]
	v_mov_b32_e32 v2, 0
	s_cbranch_vccnz .LBB0_8
; %bb.1:
	s_load_dwordx2 s[0:1], s[4:5], 0x10
	s_add_u32 s6, s14, 8
	s_addc_u32 s7, s15, 0
	v_mov_b32_e32 v1, 0
	v_mov_b32_e32 v2, 0
	s_waitcnt lgkmcnt(0)
	s_add_u32 s16, s0, 8
	s_addc_u32 s17, s1, 0
	s_mov_b64 s[18:19], 1
.LBB0_2:                                ; =>This Inner Loop Header: Depth=1
	s_load_dwordx2 s[20:21], s[16:17], 0x0
                                        ; implicit-def: $vgpr7_vgpr8
	s_waitcnt lgkmcnt(0)
	v_or_b32_e32 v4, s21, v6
	v_cmp_ne_u64_e32 vcc, 0, v[3:4]
	s_and_saveexec_b64 s[0:1], vcc
	s_xor_b64 s[22:23], exec, s[0:1]
	s_cbranch_execz .LBB0_4
; %bb.3:                                ;   in Loop: Header=BB0_2 Depth=1
	v_cvt_f32_u32_e32 v4, s20
	v_cvt_f32_u32_e32 v7, s21
	s_sub_u32 s0, 0, s20
	s_subb_u32 s1, 0, s21
	v_mac_f32_e32 v4, 0x4f800000, v7
	v_rcp_f32_e32 v4, v4
	v_mul_f32_e32 v4, 0x5f7ffffc, v4
	v_mul_f32_e32 v7, 0x2f800000, v4
	v_trunc_f32_e32 v7, v7
	v_mac_f32_e32 v4, 0xcf800000, v7
	v_cvt_u32_f32_e32 v7, v7
	v_cvt_u32_f32_e32 v4, v4
	v_mul_lo_u32 v8, s0, v7
	v_mul_hi_u32 v9, s0, v4
	v_mul_lo_u32 v11, s1, v4
	v_mul_lo_u32 v10, s0, v4
	v_add_u32_e32 v8, v9, v8
	v_add_u32_e32 v8, v8, v11
	v_mul_hi_u32 v9, v4, v10
	v_mul_lo_u32 v11, v4, v8
	v_mul_hi_u32 v13, v4, v8
	v_mul_hi_u32 v12, v7, v10
	v_mul_lo_u32 v10, v7, v10
	v_mul_hi_u32 v14, v7, v8
	v_add_co_u32_e32 v9, vcc, v9, v11
	v_addc_co_u32_e32 v11, vcc, 0, v13, vcc
	v_mul_lo_u32 v8, v7, v8
	v_add_co_u32_e32 v9, vcc, v9, v10
	v_addc_co_u32_e32 v9, vcc, v11, v12, vcc
	v_addc_co_u32_e32 v10, vcc, 0, v14, vcc
	v_add_co_u32_e32 v8, vcc, v9, v8
	v_addc_co_u32_e32 v9, vcc, 0, v10, vcc
	v_add_co_u32_e32 v4, vcc, v4, v8
	v_addc_co_u32_e32 v7, vcc, v7, v9, vcc
	v_mul_lo_u32 v8, s0, v7
	v_mul_hi_u32 v9, s0, v4
	v_mul_lo_u32 v10, s1, v4
	v_mul_lo_u32 v11, s0, v4
	v_add_u32_e32 v8, v9, v8
	v_add_u32_e32 v8, v8, v10
	v_mul_lo_u32 v12, v4, v8
	v_mul_hi_u32 v13, v4, v11
	v_mul_hi_u32 v14, v4, v8
	;; [unrolled: 1-line block ×3, first 2 shown]
	v_mul_lo_u32 v11, v7, v11
	v_mul_hi_u32 v9, v7, v8
	v_add_co_u32_e32 v12, vcc, v13, v12
	v_addc_co_u32_e32 v13, vcc, 0, v14, vcc
	v_mul_lo_u32 v8, v7, v8
	v_add_co_u32_e32 v11, vcc, v12, v11
	v_addc_co_u32_e32 v10, vcc, v13, v10, vcc
	v_addc_co_u32_e32 v9, vcc, 0, v9, vcc
	v_add_co_u32_e32 v8, vcc, v10, v8
	v_addc_co_u32_e32 v9, vcc, 0, v9, vcc
	v_add_co_u32_e32 v4, vcc, v4, v8
	v_addc_co_u32_e32 v9, vcc, v7, v9, vcc
	v_mad_u64_u32 v[7:8], s[0:1], v5, v9, 0
	v_mul_hi_u32 v10, v5, v4
	v_add_co_u32_e32 v11, vcc, v10, v7
	v_addc_co_u32_e32 v12, vcc, 0, v8, vcc
	v_mad_u64_u32 v[7:8], s[0:1], v6, v4, 0
	v_mad_u64_u32 v[9:10], s[0:1], v6, v9, 0
	v_add_co_u32_e32 v4, vcc, v11, v7
	v_addc_co_u32_e32 v4, vcc, v12, v8, vcc
	v_addc_co_u32_e32 v7, vcc, 0, v10, vcc
	v_add_co_u32_e32 v4, vcc, v4, v9
	v_addc_co_u32_e32 v9, vcc, 0, v7, vcc
	v_mul_lo_u32 v10, s21, v4
	v_mul_lo_u32 v11, s20, v9
	v_mad_u64_u32 v[7:8], s[0:1], s20, v4, 0
	v_add3_u32 v8, v8, v11, v10
	v_sub_u32_e32 v10, v6, v8
	v_mov_b32_e32 v11, s21
	v_sub_co_u32_e32 v7, vcc, v5, v7
	v_subb_co_u32_e64 v10, s[0:1], v10, v11, vcc
	v_subrev_co_u32_e64 v11, s[0:1], s20, v7
	v_subbrev_co_u32_e64 v10, s[0:1], 0, v10, s[0:1]
	v_cmp_le_u32_e64 s[0:1], s21, v10
	v_cndmask_b32_e64 v12, 0, -1, s[0:1]
	v_cmp_le_u32_e64 s[0:1], s20, v11
	v_cndmask_b32_e64 v11, 0, -1, s[0:1]
	v_cmp_eq_u32_e64 s[0:1], s21, v10
	v_cndmask_b32_e64 v10, v12, v11, s[0:1]
	v_add_co_u32_e64 v11, s[0:1], 2, v4
	v_addc_co_u32_e64 v12, s[0:1], 0, v9, s[0:1]
	v_add_co_u32_e64 v13, s[0:1], 1, v4
	v_addc_co_u32_e64 v14, s[0:1], 0, v9, s[0:1]
	v_subb_co_u32_e32 v8, vcc, v6, v8, vcc
	v_cmp_ne_u32_e64 s[0:1], 0, v10
	v_cmp_le_u32_e32 vcc, s21, v8
	v_cndmask_b32_e64 v10, v14, v12, s[0:1]
	v_cndmask_b32_e64 v12, 0, -1, vcc
	v_cmp_le_u32_e32 vcc, s20, v7
	v_cndmask_b32_e64 v7, 0, -1, vcc
	v_cmp_eq_u32_e32 vcc, s21, v8
	v_cndmask_b32_e32 v7, v12, v7, vcc
	v_cmp_ne_u32_e32 vcc, 0, v7
	v_cndmask_b32_e64 v7, v13, v11, s[0:1]
	v_cndmask_b32_e32 v8, v9, v10, vcc
	v_cndmask_b32_e32 v7, v4, v7, vcc
.LBB0_4:                                ;   in Loop: Header=BB0_2 Depth=1
	s_andn2_saveexec_b64 s[0:1], s[22:23]
	s_cbranch_execz .LBB0_6
; %bb.5:                                ;   in Loop: Header=BB0_2 Depth=1
	v_cvt_f32_u32_e32 v4, s20
	s_sub_i32 s22, 0, s20
	v_rcp_iflag_f32_e32 v4, v4
	v_mul_f32_e32 v4, 0x4f7ffffe, v4
	v_cvt_u32_f32_e32 v4, v4
	v_mul_lo_u32 v7, s22, v4
	v_mul_hi_u32 v7, v4, v7
	v_add_u32_e32 v4, v4, v7
	v_mul_hi_u32 v4, v5, v4
	v_mul_lo_u32 v7, v4, s20
	v_add_u32_e32 v8, 1, v4
	v_sub_u32_e32 v7, v5, v7
	v_subrev_u32_e32 v9, s20, v7
	v_cmp_le_u32_e32 vcc, s20, v7
	v_cndmask_b32_e32 v7, v7, v9, vcc
	v_cndmask_b32_e32 v4, v4, v8, vcc
	v_add_u32_e32 v8, 1, v4
	v_cmp_le_u32_e32 vcc, s20, v7
	v_cndmask_b32_e32 v7, v4, v8, vcc
	v_mov_b32_e32 v8, v3
.LBB0_6:                                ;   in Loop: Header=BB0_2 Depth=1
	s_or_b64 exec, exec, s[0:1]
	v_mul_lo_u32 v4, v8, s20
	v_mul_lo_u32 v11, v7, s21
	v_mad_u64_u32 v[9:10], s[0:1], v7, s20, 0
	s_load_dwordx2 s[0:1], s[6:7], 0x0
	s_add_u32 s18, s18, 1
	v_add3_u32 v4, v10, v11, v4
	v_sub_co_u32_e32 v5, vcc, v5, v9
	v_subb_co_u32_e32 v4, vcc, v6, v4, vcc
	s_waitcnt lgkmcnt(0)
	v_mul_lo_u32 v4, s0, v4
	v_mul_lo_u32 v6, s1, v5
	v_mad_u64_u32 v[1:2], s[0:1], s0, v5, v[1:2]
	s_addc_u32 s19, s19, 0
	s_add_u32 s6, s6, 8
	v_add3_u32 v2, v6, v2, v4
	v_mov_b32_e32 v4, s10
	v_mov_b32_e32 v5, s11
	s_addc_u32 s7, s7, 0
	v_cmp_ge_u64_e32 vcc, s[18:19], v[4:5]
	s_add_u32 s16, s16, 8
	s_addc_u32 s17, s17, 0
	s_cbranch_vccnz .LBB0_9
; %bb.7:                                ;   in Loop: Header=BB0_2 Depth=1
	v_mov_b32_e32 v5, v7
	v_mov_b32_e32 v6, v8
	s_branch .LBB0_2
.LBB0_8:
	v_mov_b32_e32 v8, v6
	v_mov_b32_e32 v7, v5
.LBB0_9:
	s_lshl_b64 s[0:1], s[10:11], 3
	s_add_u32 s0, s14, s0
	s_addc_u32 s1, s15, s1
	s_load_dwordx2 s[6:7], s[0:1], 0x0
	s_load_dwordx2 s[10:11], s[4:5], 0x20
                                        ; implicit-def: $vgpr67
                                        ; implicit-def: $vgpr70
                                        ; implicit-def: $vgpr63
                                        ; implicit-def: $vgpr65
                                        ; implicit-def: $vgpr69
                                        ; implicit-def: $vgpr64
                                        ; implicit-def: $vgpr68
                                        ; implicit-def: $vgpr71
                                        ; implicit-def: $vgpr66
	s_waitcnt lgkmcnt(0)
	v_mad_u64_u32 v[1:2], s[0:1], s6, v7, v[1:2]
	s_mov_b32 s0, 0x3291620
	v_mul_lo_u32 v3, s6, v8
	v_mul_lo_u32 v4, s7, v7
	v_mul_hi_u32 v5, v0, s0
	v_cmp_gt_u64_e32 vcc, s[10:11], v[7:8]
	v_cmp_le_u64_e64 s[0:1], s[10:11], v[7:8]
	v_add3_u32 v2, v4, v2, v3
	v_mul_u32_u24_e32 v3, 0x51, v5
	v_sub_u32_e32 v62, v0, v3
	s_and_saveexec_b64 s[4:5], s[0:1]
	s_xor_b64 s[0:1], exec, s[4:5]
; %bb.10:
	v_add_u32_e32 v67, 0x51, v62
	v_add_u32_e32 v70, 0xa2, v62
	v_add_u32_e32 v63, 0xf3, v62
	v_add_u32_e32 v65, 0x144, v62
	v_add_u32_e32 v69, 0x195, v62
	v_add_u32_e32 v64, 0x1e6, v62
	v_add_u32_e32 v68, 0x237, v62
	v_add_u32_e32 v71, 0x288, v62
	v_add_u32_e32 v66, 0x2d9, v62
; %bb.11:
	s_or_saveexec_b64 s[4:5], s[0:1]
	v_lshlrev_b64 v[0:1], 3, v[1:2]
                                        ; implicit-def: $vgpr11
                                        ; implicit-def: $vgpr13
                                        ; implicit-def: $vgpr7
                                        ; implicit-def: $vgpr17
                                        ; implicit-def: $vgpr9
                                        ; implicit-def: $vgpr21
                                        ; implicit-def: $vgpr57
                                        ; implicit-def: $vgpr19
                                        ; implicit-def: $vgpr5
                                        ; implicit-def: $vgpr3
                                        ; implicit-def: $vgpr29
                                        ; implicit-def: $vgpr35
                                        ; implicit-def: $vgpr31
                                        ; implicit-def: $vgpr39
                                        ; implicit-def: $vgpr33
                                        ; implicit-def: $vgpr27
                                        ; implicit-def: $vgpr59
                                        ; implicit-def: $vgpr25
                                        ; implicit-def: $vgpr23
                                        ; implicit-def: $vgpr15
                                        ; implicit-def: $vgpr43
                                        ; implicit-def: $vgpr49
                                        ; implicit-def: $vgpr45
                                        ; implicit-def: $vgpr51
                                        ; implicit-def: $vgpr47
                                        ; implicit-def: $vgpr55
                                        ; implicit-def: $vgpr61
                                        ; implicit-def: $vgpr53
                                        ; implicit-def: $vgpr41
                                        ; implicit-def: $vgpr37
	s_xor_b64 exec, exec, s[4:5]
	s_cbranch_execz .LBB0_13
; %bb.12:
	v_mad_u64_u32 v[2:3], s[0:1], s2, v62, 0
	v_add_u32_e32 v63, 0xf3, v62
	v_mad_u64_u32 v[6:7], s[0:1], s2, v63, 0
	v_mad_u64_u32 v[3:4], s[0:1], s3, v62, v[3:4]
	v_mov_b32_e32 v5, s13
	v_add_co_u32_e64 v4, s[0:1], s12, v0
	v_addc_co_u32_e64 v5, s[0:1], v5, v1, s[0:1]
	v_mad_u64_u32 v[7:8], s[0:1], s3, v63, v[7:8]
	v_add_u32_e32 v64, 0x1e6, v62
	v_mad_u64_u32 v[8:9], s[0:1], s2, v64, 0
	v_lshlrev_b64 v[2:3], 3, v[2:3]
	v_add_u32_e32 v66, 0x2d9, v62
	v_add_co_u32_e64 v2, s[0:1], v4, v2
	v_addc_co_u32_e64 v3, s[0:1], v5, v3, s[0:1]
	v_mad_u64_u32 v[9:10], s[0:1], s3, v64, v[9:10]
	v_mad_u64_u32 v[10:11], s[0:1], s2, v66, 0
	v_lshlrev_b64 v[6:7], 3, v[6:7]
	v_add_u32_e32 v14, 0x3cc, v62
	v_add_co_u32_e64 v6, s[0:1], v4, v6
	v_addc_co_u32_e64 v7, s[0:1], v5, v7, s[0:1]
	v_mad_u64_u32 v[11:12], s[0:1], s3, v66, v[11:12]
	;; [unrolled: 6-line block ×5, first 2 shown]
	v_mad_u64_u32 v[18:19], s[0:1], s2, v22, 0
	v_lshlrev_b64 v[14:15], 3, v[14:15]
	v_add_u32_e32 v67, 0x51, v62
	v_add_co_u32_e64 v20, s[0:1], v4, v14
	v_addc_co_u32_e64 v21, s[0:1], v5, v15, s[0:1]
	v_lshlrev_b64 v[14:15], 3, v[16:17]
	v_mov_b32_e32 v16, v19
	v_mad_u64_u32 v[16:17], s[0:1], s3, v22, v[16:17]
	v_add_u32_e32 v17, 0x798, v62
	v_mad_u64_u32 v[22:23], s[0:1], s2, v17, 0
	v_add_co_u32_e64 v28, s[0:1], v4, v14
	v_mov_b32_e32 v19, v16
	v_mov_b32_e32 v16, v23
	v_addc_co_u32_e64 v29, s[0:1], v5, v15, s[0:1]
	v_lshlrev_b64 v[14:15], 3, v[18:19]
	v_mad_u64_u32 v[16:17], s[0:1], s3, v17, v[16:17]
	v_add_u32_e32 v19, 0x88b, v62
	v_mad_u64_u32 v[17:18], s[0:1], s2, v19, 0
	v_add_co_u32_e64 v30, s[0:1], v4, v14
	v_mov_b32_e32 v23, v16
	v_addc_co_u32_e64 v31, s[0:1], v5, v15, s[0:1]
	v_lshlrev_b64 v[14:15], 3, v[22:23]
	v_mov_b32_e32 v16, v18
	v_mad_u64_u32 v[22:23], s[0:1], s2, v67, 0
	v_mad_u64_u32 v[18:19], s[0:1], s3, v19, v[16:17]
	v_add_co_u32_e64 v32, s[0:1], v4, v14
	v_mov_b32_e32 v16, v23
	v_addc_co_u32_e64 v33, s[0:1], v5, v15, s[0:1]
	v_lshlrev_b64 v[14:15], 3, v[17:18]
	v_mad_u64_u32 v[16:17], s[0:1], s3, v67, v[16:17]
	v_add_u32_e32 v65, 0x144, v62
	v_mad_u64_u32 v[17:18], s[0:1], s2, v65, 0
	v_add_co_u32_e64 v34, s[0:1], v4, v14
	v_mov_b32_e32 v23, v16
	v_add_u32_e32 v68, 0x237, v62
	v_addc_co_u32_e64 v35, s[0:1], v5, v15, s[0:1]
	v_lshlrev_b64 v[14:15], 3, v[22:23]
	v_mov_b32_e32 v16, v18
	v_mad_u64_u32 v[22:23], s[0:1], s2, v68, 0
	v_mad_u64_u32 v[18:19], s[0:1], s3, v65, v[16:17]
	v_add_co_u32_e64 v38, s[0:1], v4, v14
	v_mov_b32_e32 v16, v23
	v_addc_co_u32_e64 v39, s[0:1], v5, v15, s[0:1]
	v_lshlrev_b64 v[14:15], 3, v[17:18]
	v_mad_u64_u32 v[16:17], s[0:1], s3, v68, v[16:17]
	v_add_u32_e32 v19, 0x32a, v62
	v_mad_u64_u32 v[17:18], s[0:1], s2, v19, 0
	v_add_co_u32_e64 v56, s[0:1], v4, v14
	v_mov_b32_e32 v23, v16
	v_mov_b32_e32 v16, v18
	v_addc_co_u32_e64 v57, s[0:1], v5, v15, s[0:1]
	v_mad_u64_u32 v[18:19], s[0:1], s3, v19, v[16:17]
	v_add_u32_e32 v19, 0x41d, v62
	v_lshlrev_b64 v[14:15], 3, v[22:23]
	v_mad_u64_u32 v[22:23], s[0:1], s2, v19, 0
	v_add_co_u32_e64 v72, s[0:1], v4, v14
	v_mov_b32_e32 v16, v23
	v_addc_co_u32_e64 v73, s[0:1], v5, v15, s[0:1]
	v_lshlrev_b64 v[14:15], 3, v[17:18]
	v_mad_u64_u32 v[16:17], s[0:1], s3, v19, v[16:17]
	v_add_u32_e32 v19, 0x510, v62
	v_mad_u64_u32 v[17:18], s[0:1], s2, v19, 0
	v_add_co_u32_e64 v74, s[0:1], v4, v14
	v_mov_b32_e32 v23, v16
	v_mov_b32_e32 v16, v18
	v_addc_co_u32_e64 v75, s[0:1], v5, v15, s[0:1]
	v_mad_u64_u32 v[18:19], s[0:1], s3, v19, v[16:17]
	v_add_u32_e32 v19, 0x603, v62
	v_lshlrev_b64 v[14:15], 3, v[22:23]
	;; [unrolled: 15-line block ×3, first 2 shown]
	v_mad_u64_u32 v[22:23], s[0:1], s2, v19, 0
	v_add_co_u32_e64 v80, s[0:1], v4, v14
	v_mov_b32_e32 v16, v23
	v_addc_co_u32_e64 v81, s[0:1], v5, v15, s[0:1]
	v_lshlrev_b64 v[14:15], 3, v[17:18]
	v_mad_u64_u32 v[16:17], s[0:1], s3, v19, v[16:17]
	v_add_u32_e32 v19, 0x8dc, v62
	v_mad_u64_u32 v[17:18], s[0:1], s2, v19, 0
	v_add_co_u32_e64 v82, s[0:1], v4, v14
	v_mov_b32_e32 v23, v16
	v_add_u32_e32 v70, 0xa2, v62
	v_addc_co_u32_e64 v83, s[0:1], v5, v15, s[0:1]
	v_lshlrev_b64 v[14:15], 3, v[22:23]
	v_mov_b32_e32 v16, v18
	v_mad_u64_u32 v[22:23], s[0:1], s2, v70, 0
	v_mad_u64_u32 v[18:19], s[0:1], s3, v19, v[16:17]
	v_add_co_u32_e64 v84, s[0:1], v4, v14
	v_mov_b32_e32 v16, v23
	v_addc_co_u32_e64 v85, s[0:1], v5, v15, s[0:1]
	v_lshlrev_b64 v[14:15], 3, v[17:18]
	v_mad_u64_u32 v[16:17], s[0:1], s3, v70, v[16:17]
	v_add_u32_e32 v69, 0x195, v62
	v_mad_u64_u32 v[17:18], s[0:1], s2, v69, 0
	v_add_co_u32_e64 v86, s[0:1], v4, v14
	v_mov_b32_e32 v23, v16
	v_add_u32_e32 v71, 0x288, v62
	v_addc_co_u32_e64 v87, s[0:1], v5, v15, s[0:1]
	v_lshlrev_b64 v[14:15], 3, v[22:23]
	v_mov_b32_e32 v16, v18
	v_mad_u64_u32 v[22:23], s[0:1], s2, v71, 0
	v_mad_u64_u32 v[18:19], s[0:1], s3, v69, v[16:17]
	v_add_co_u32_e64 v88, s[0:1], v4, v14
	v_mov_b32_e32 v16, v23
	v_addc_co_u32_e64 v89, s[0:1], v5, v15, s[0:1]
	v_lshlrev_b64 v[14:15], 3, v[17:18]
	v_mad_u64_u32 v[16:17], s[0:1], s3, v71, v[16:17]
	v_add_u32_e32 v19, 0x37b, v62
	v_mad_u64_u32 v[17:18], s[0:1], s2, v19, 0
	v_add_co_u32_e64 v90, s[0:1], v4, v14
	v_mov_b32_e32 v23, v16
	v_mov_b32_e32 v16, v18
	v_addc_co_u32_e64 v91, s[0:1], v5, v15, s[0:1]
	v_mad_u64_u32 v[18:19], s[0:1], s3, v19, v[16:17]
	v_add_u32_e32 v19, 0x46e, v62
	v_lshlrev_b64 v[14:15], 3, v[22:23]
	v_mad_u64_u32 v[22:23], s[0:1], s2, v19, 0
	v_add_co_u32_e64 v92, s[0:1], v4, v14
	v_mov_b32_e32 v16, v23
	v_addc_co_u32_e64 v93, s[0:1], v5, v15, s[0:1]
	v_lshlrev_b64 v[14:15], 3, v[17:18]
	v_mad_u64_u32 v[16:17], s[0:1], s3, v19, v[16:17]
	v_add_u32_e32 v19, 0x561, v62
	v_mad_u64_u32 v[17:18], s[0:1], s2, v19, 0
	v_add_co_u32_e64 v94, s[0:1], v4, v14
	v_mov_b32_e32 v23, v16
	v_mov_b32_e32 v16, v18
	v_addc_co_u32_e64 v95, s[0:1], v5, v15, s[0:1]
	v_mad_u64_u32 v[18:19], s[0:1], s3, v19, v[16:17]
	v_add_u32_e32 v19, 0x654, v62
	v_lshlrev_b64 v[14:15], 3, v[22:23]
	;; [unrolled: 15-line block ×3, first 2 shown]
	v_mad_u64_u32 v[22:23], s[0:1], s2, v19, 0
	v_add_co_u32_e64 v100, s[0:1], v4, v14
	v_mov_b32_e32 v16, v23
	v_addc_co_u32_e64 v101, s[0:1], v5, v15, s[0:1]
	v_lshlrev_b64 v[14:15], 3, v[17:18]
	v_mad_u64_u32 v[16:17], s[0:1], s3, v19, v[16:17]
	v_add_u32_e32 v19, 0x92d, v62
	v_mad_u64_u32 v[17:18], s[0:1], s2, v19, 0
	v_add_co_u32_e64 v102, s[0:1], v4, v14
	v_mov_b32_e32 v23, v16
	v_mov_b32_e32 v16, v18
	v_addc_co_u32_e64 v103, s[0:1], v5, v15, s[0:1]
	v_mad_u64_u32 v[18:19], s[0:1], s3, v19, v[16:17]
	v_lshlrev_b64 v[14:15], 3, v[22:23]
	v_add_co_u32_e64 v104, s[0:1], v4, v14
	v_addc_co_u32_e64 v105, s[0:1], v5, v15, s[0:1]
	v_lshlrev_b64 v[14:15], 3, v[17:18]
	v_add_co_u32_e64 v106, s[0:1], v4, v14
	v_addc_co_u32_e64 v107, s[0:1], v5, v15, s[0:1]
	global_load_dwordx2 v[36:37], v[2:3], off
	global_load_dwordx2 v[40:41], v[6:7], off
	;; [unrolled: 1-line block ×15, first 2 shown]
                                        ; kill: killed $vgpr30 killed $vgpr31
                                        ; kill: killed $vgpr2 killed $vgpr3
                                        ; kill: killed $vgpr34 killed $vgpr35
                                        ; kill: killed $vgpr12 killed $vgpr13
                                        ; kill: killed $vgpr6 killed $vgpr7
                                        ; kill: killed $vgpr74 killed $vgpr75
                                        ; kill: killed $vgpr38 killed $vgpr39
                                        ; kill: killed $vgpr28 killed $vgpr29
                                        ; kill: killed $vgpr8 killed $vgpr9
                                        ; kill: killed $vgpr56 killed $vgpr57
                                        ; kill: killed $vgpr32 killed $vgpr33
                                        ; kill: killed $vgpr10 killed $vgpr11
                                        ; kill: killed $vgpr72 killed $vgpr73
                                        ; kill: killed $vgpr20 killed $vgpr21
                                        ; kill: killed $vgpr76 killed $vgpr77
	global_load_dwordx2 v[32:33], v[78:79], off
	global_load_dwordx2 v[38:39], v[80:81], off
	global_load_dwordx2 v[30:31], v[82:83], off
	global_load_dwordx2 v[34:35], v[84:85], off
	global_load_dwordx2 v[28:29], v[86:87], off
	global_load_dwordx2 v[2:3], v[88:89], off
	global_load_dwordx2 v[4:5], v[90:91], off
	global_load_dwordx2 v[18:19], v[92:93], off
	global_load_dwordx2 v[56:57], v[94:95], off
	global_load_dwordx2 v[20:21], v[96:97], off
	global_load_dwordx2 v[8:9], v[98:99], off
	global_load_dwordx2 v[16:17], v[100:101], off
	global_load_dwordx2 v[6:7], v[102:103], off
	global_load_dwordx2 v[12:13], v[104:105], off
	global_load_dwordx2 v[10:11], v[106:107], off
.LBB0_13:
	s_or_b64 exec, exec, s[4:5]
	s_waitcnt vmcnt(23)
	v_add_f32_e32 v72, v50, v54
	v_fma_f32 v74, -0.5, v72, v36
	v_sub_f32_e32 v72, v52, v54
	s_waitcnt vmcnt(21)
	v_sub_f32_e32 v73, v48, v50
	v_add_f32_e32 v77, v73, v72
	v_add_f32_e32 v72, v48, v52
	;; [unrolled: 1-line block ×3, first 2 shown]
	v_fmac_f32_e32 v36, -0.5, v72
	v_sub_f32_e32 v76, v55, v51
	v_mov_b32_e32 v78, v36
	v_sub_f32_e32 v75, v53, v49
	v_fmac_f32_e32 v78, 0xbf737871, v76
	v_sub_f32_e32 v72, v54, v52
	v_sub_f32_e32 v73, v50, v48
	v_fmac_f32_e32 v36, 0x3f737871, v76
	v_fmac_f32_e32 v78, 0x3f167918, v75
	v_add_f32_e32 v72, v73, v72
	v_fmac_f32_e32 v36, 0xbf167918, v75
	v_fmac_f32_e32 v78, 0x3e9e377a, v72
	v_fmac_f32_e32 v36, 0x3e9e377a, v72
	v_add_f32_e32 v72, v44, v46
	v_fma_f32 v87, -0.5, v72, v40
	v_sub_f32_e32 v72, v60, v46
	s_waitcnt vmcnt(20)
	v_sub_f32_e32 v73, v42, v44
	v_add_f32_e32 v79, v73, v72
	v_add_f32_e32 v72, v42, v60
	;; [unrolled: 1-line block ×3, first 2 shown]
	v_fmac_f32_e32 v40, -0.5, v72
	v_sub_f32_e32 v72, v46, v60
	v_sub_f32_e32 v73, v44, v42
	v_add_f32_e32 v73, v73, v72
	v_sub_f32_e32 v80, v47, v45
	v_mov_b32_e32 v72, v40
	v_fmac_f32_e32 v72, 0xbf737871, v80
	v_sub_f32_e32 v81, v61, v43
	v_fmac_f32_e32 v40, 0x3f737871, v80
	v_fmac_f32_e32 v72, 0x3f167918, v81
	;; [unrolled: 1-line block ×5, first 2 shown]
	v_sub_f32_e32 v73, v61, v47
	v_sub_f32_e32 v82, v43, v45
	v_add_f32_e32 v82, v82, v73
	v_add_f32_e32 v73, v45, v47
	;; [unrolled: 1-line block ×3, first 2 shown]
	v_sub_f32_e32 v90, v46, v44
	v_add_f32_e32 v46, v46, v84
	v_fma_f32 v89, -0.5, v73, v41
	v_add_f32_e32 v73, v61, v41
	v_fmac_f32_e32 v41, -0.5, v85
	v_sub_f32_e32 v88, v60, v42
	v_sub_f32_e32 v60, v47, v61
	;; [unrolled: 1-line block ×3, first 2 shown]
	v_add_f32_e32 v44, v44, v46
	v_add_f32_e32 v61, v61, v60
	v_mov_b32_e32 v60, v41
	v_add_f32_e32 v46, v42, v44
	v_mov_b32_e32 v42, v87
	v_fmac_f32_e32 v60, 0x3f737871, v90
	v_fmac_f32_e32 v41, 0xbf737871, v90
	;; [unrolled: 1-line block ×3, first 2 shown]
	v_mov_b32_e32 v44, v89
	v_fmac_f32_e32 v60, 0xbf167918, v88
	v_fmac_f32_e32 v41, 0x3f167918, v88
	v_mov_b32_e32 v91, v74
	v_fmac_f32_e32 v42, 0x3f167918, v80
	v_fmac_f32_e32 v44, 0xbf737871, v88
	;; [unrolled: 1-line block ×5, first 2 shown]
	v_add_f32_e32 v61, v54, v83
	v_fmac_f32_e32 v91, 0x3f737871, v75
	v_fmac_f32_e32 v42, 0x3e9e377a, v79
	;; [unrolled: 1-line block ×5, first 2 shown]
	v_add_f32_e32 v61, v50, v61
	s_mov_b32 s0, 0x3f737871
	v_fmac_f32_e32 v91, 0x3f167918, v76
	v_fmac_f32_e32 v44, 0x3e9e377a, v82
	v_mul_f32_e32 v92, 0x3f4f1bbd, v42
	v_mul_f32_e32 v93, 0x3e9e377a, v72
	;; [unrolled: 1-line block ×3, first 2 shown]
	v_fmac_f32_e32 v74, 0xbf737871, v75
	v_fmac_f32_e32 v87, 0x3e9e377a, v79
	;; [unrolled: 1-line block ×3, first 2 shown]
	v_add_f32_e32 v61, v48, v61
	v_fmac_f32_e32 v91, 0x3e9e377a, v77
	v_fmac_f32_e32 v92, 0x3f167918, v44
	v_fmac_f32_e32 v93, 0x3f737871, v60
	v_fma_f32 v94, v41, s0, -v85
	v_mul_u32_u24_e32 v95, 10, v62
	v_fmac_f32_e32 v74, 0xbf167918, v76
	v_fmac_f32_e32 v89, 0x3e9e377a, v82
	s_mov_b32 s1, 0x3f167918
	v_mul_f32_e32 v75, 0x3f4f1bbd, v87
	v_add_f32_e32 v83, v46, v61
	v_add_f32_e32 v84, v91, v92
	;; [unrolled: 1-line block ×4, first 2 shown]
	v_lshl_add_u32 v95, v95, 2, 0
	v_fmac_f32_e32 v74, 0x3e9e377a, v77
	v_fma_f32 v77, v89, s1, -v75
	ds_write2_b64 v95, v[83:84], v[85:86] offset1:1
	v_sub_f32_e32 v83, v91, v92
	v_sub_f32_e32 v84, v78, v93
	;; [unrolled: 1-line block ×3, first 2 shown]
	v_add_f32_e32 v75, v74, v77
	ds_write2_b64 v95, v[75:76], v[83:84] offset0:2 offset1:3
	v_sub_f32_e32 v76, v74, v77
	s_waitcnt vmcnt(15)
	v_sub_f32_e32 v61, v24, v26
	s_waitcnt vmcnt(11)
	v_sub_f32_e32 v74, v34, v38
	v_add_f32_e32 v46, v38, v26
	v_add_f32_e32 v61, v74, v61
	;; [unrolled: 1-line block ×3, first 2 shown]
	v_sub_f32_e32 v75, v36, v94
	v_add_f32_e32 v36, v24, v14
	v_fma_f32 v46, -0.5, v46, v14
	v_fmac_f32_e32 v14, -0.5, v74
	v_sub_f32_e32 v78, v27, v39
	v_mov_b32_e32 v79, v14
	ds_write_b64 v95, v[75:76] offset:32
	v_sub_f32_e32 v74, v26, v24
	v_sub_f32_e32 v75, v38, v34
	v_fmac_f32_e32 v79, 0xbf737871, v78
	v_sub_f32_e32 v80, v25, v35
	v_fmac_f32_e32 v14, 0x3f737871, v78
	v_add_f32_e32 v74, v75, v74
	v_fmac_f32_e32 v79, 0x3f167918, v80
	v_fmac_f32_e32 v14, 0xbf167918, v80
	;; [unrolled: 1-line block ×4, first 2 shown]
	v_sub_f32_e32 v74, v58, v32
	s_waitcnt vmcnt(10)
	v_sub_f32_e32 v75, v28, v30
	v_add_f32_e32 v81, v75, v74
	v_add_f32_e32 v74, v30, v32
	;; [unrolled: 1-line block ×3, first 2 shown]
	v_fma_f32 v96, -0.5, v74, v22
	v_add_f32_e32 v74, v58, v22
	v_fmac_f32_e32 v22, -0.5, v75
	v_sub_f32_e32 v82, v33, v31
	v_mov_b32_e32 v97, v22
	v_sub_f32_e32 v75, v32, v58
	v_sub_f32_e32 v76, v30, v28
	v_fmac_f32_e32 v97, 0xbf737871, v82
	v_sub_f32_e32 v83, v59, v29
	v_fmac_f32_e32 v22, 0x3f737871, v82
	v_add_f32_e32 v75, v76, v75
	v_fmac_f32_e32 v97, 0x3f167918, v83
	v_fmac_f32_e32 v22, 0xbf167918, v83
	;; [unrolled: 1-line block ×4, first 2 shown]
	v_sub_f32_e32 v75, v59, v33
	v_sub_f32_e32 v76, v29, v31
	v_add_f32_e32 v84, v76, v75
	v_add_f32_e32 v75, v31, v33
	v_fma_f32 v100, -0.5, v75, v23
	v_add_f32_e32 v75, v29, v59
	v_add_f32_e32 v101, v59, v23
	v_fmac_f32_e32 v23, -0.5, v75
	v_sub_f32_e32 v85, v58, v28
	v_sub_f32_e32 v58, v33, v59
	v_sub_f32_e32 v59, v31, v29
	v_mov_b32_e32 v103, v96
	v_add_f32_e32 v58, v59, v58
	v_sub_f32_e32 v59, v32, v30
	v_mov_b32_e32 v102, v23
	v_fmac_f32_e32 v103, 0x3f737871, v83
	v_mov_b32_e32 v104, v100
	v_fmac_f32_e32 v102, 0x3f737871, v59
	v_fmac_f32_e32 v23, 0xbf737871, v59
	v_mov_b32_e32 v86, v46
	v_add_f32_e32 v32, v32, v74
	v_fmac_f32_e32 v103, 0x3f167918, v82
	v_fmac_f32_e32 v104, 0xbf737871, v85
	;; [unrolled: 1-line block ×4, first 2 shown]
	v_add_f32_e32 v36, v26, v36
	v_fmac_f32_e32 v86, 0x3f737871, v80
	v_add_f32_e32 v30, v30, v32
	v_fmac_f32_e32 v103, 0x3e9e377a, v81
	v_fmac_f32_e32 v104, 0xbf167918, v59
	;; [unrolled: 1-line block ×4, first 2 shown]
	v_add_f32_e32 v36, v38, v36
	v_fmac_f32_e32 v86, 0x3f167918, v78
	v_add_f32_e32 v28, v28, v30
	v_fmac_f32_e32 v104, 0x3e9e377a, v84
	v_mul_f32_e32 v30, 0x3f4f1bbd, v103
	v_mul_f32_e32 v32, 0x3e9e377a, v97
	;; [unrolled: 1-line block ×3, first 2 shown]
	v_fmac_f32_e32 v96, 0xbf737871, v83
	v_add_f32_e32 v36, v34, v36
	v_fmac_f32_e32 v86, 0x3e9e377a, v61
	v_fmac_f32_e32 v30, 0x3f167918, v104
	;; [unrolled: 1-line block ×3, first 2 shown]
	v_fma_f32 v88, v23, s0, -v58
	v_mul_i32_i24_e32 v58, 10, v67
	v_fmac_f32_e32 v96, 0xbf167918, v82
	v_fmac_f32_e32 v100, 0x3f737871, v85
	v_add_f32_e32 v74, v28, v36
	v_add_f32_e32 v75, v86, v30
	v_add_f32_e32 v76, v79, v32
	v_add_f32_e32 v77, v14, v88
	v_lshl_add_u32 v58, v58, 2, 0
	v_fmac_f32_e32 v46, 0xbf737871, v80
	v_fmac_f32_e32 v96, 0x3e9e377a, v81
	;; [unrolled: 1-line block ×3, first 2 shown]
	ds_write2_b64 v58, v[74:75], v[76:77] offset1:1
	v_sub_f32_e32 v74, v86, v30
	v_fmac_f32_e32 v46, 0xbf167918, v78
	v_fmac_f32_e32 v100, 0x3e9e377a, v84
	v_mul_f32_e32 v30, 0x3f4f1bbd, v96
	v_fmac_f32_e32 v46, 0x3e9e377a, v61
	v_fma_f32 v30, v100, s1, -v30
	v_sub_f32_e32 v75, v79, v32
	v_sub_f32_e32 v77, v36, v28
	v_add_f32_e32 v76, v46, v30
	ds_write2_b64 v58, v[76:77], v[74:75] offset0:2 offset1:3
	v_sub_f32_e32 v74, v14, v88
	s_waitcnt vmcnt(5)
	v_sub_f32_e32 v14, v18, v20
	s_waitcnt vmcnt(1)
	v_sub_f32_e32 v28, v12, v16
	v_add_f32_e32 v14, v28, v14
	v_add_f32_e32 v28, v16, v20
	;; [unrolled: 1-line block ×3, first 2 shown]
	v_sub_f32_e32 v75, v46, v30
	v_fma_f32 v28, -0.5, v28, v2
	v_add_f32_e32 v30, v18, v2
	v_fmac_f32_e32 v2, -0.5, v32
	v_sub_f32_e32 v32, v20, v18
	v_sub_f32_e32 v36, v16, v12
	v_add_f32_e32 v32, v36, v32
	v_sub_f32_e32 v36, v21, v17
	v_mov_b32_e32 v46, v2
	v_fmac_f32_e32 v46, 0xbf737871, v36
	v_sub_f32_e32 v59, v19, v13
	v_fmac_f32_e32 v2, 0x3f737871, v36
	v_fmac_f32_e32 v46, 0x3f167918, v59
	;; [unrolled: 1-line block ×5, first 2 shown]
	v_sub_f32_e32 v32, v56, v8
	s_waitcnt vmcnt(0)
	v_sub_f32_e32 v61, v10, v6
	ds_write_b64 v58, v[74:75] offset:32
	v_add_f32_e32 v32, v61, v32
	v_add_f32_e32 v61, v6, v8
	v_add_f32_e32 v74, v10, v56
	v_fma_f32 v105, -0.5, v61, v4
	v_add_f32_e32 v61, v56, v4
	v_fmac_f32_e32 v4, -0.5, v74
	v_sub_f32_e32 v78, v9, v7
	v_mov_b32_e32 v108, v4
	v_sub_f32_e32 v74, v8, v56
	v_sub_f32_e32 v75, v6, v10
	v_fmac_f32_e32 v108, 0xbf737871, v78
	v_sub_f32_e32 v79, v57, v11
	v_fmac_f32_e32 v4, 0x3f737871, v78
	v_add_f32_e32 v74, v75, v74
	v_fmac_f32_e32 v108, 0x3f167918, v79
	v_fmac_f32_e32 v4, 0xbf167918, v79
	;; [unrolled: 1-line block ×4, first 2 shown]
	v_sub_f32_e32 v74, v57, v9
	v_sub_f32_e32 v75, v11, v7
	v_add_f32_e32 v80, v75, v74
	v_add_f32_e32 v74, v7, v9
	v_fma_f32 v109, -0.5, v74, v5
	v_add_f32_e32 v74, v11, v57
	v_add_f32_e32 v110, v57, v5
	v_fmac_f32_e32 v5, -0.5, v74
	v_sub_f32_e32 v81, v56, v10
	v_sub_f32_e32 v56, v9, v57
	;; [unrolled: 1-line block ×3, first 2 shown]
	v_mov_b32_e32 v112, v105
	v_add_f32_e32 v56, v57, v56
	v_sub_f32_e32 v57, v8, v6
	v_mov_b32_e32 v111, v5
	v_fmac_f32_e32 v112, 0x3f737871, v79
	v_mov_b32_e32 v113, v109
	v_fmac_f32_e32 v111, 0x3f737871, v57
	v_fmac_f32_e32 v5, 0xbf737871, v57
	v_mov_b32_e32 v82, v28
	v_add_f32_e32 v8, v8, v61
	v_fmac_f32_e32 v112, 0x3f167918, v78
	v_fmac_f32_e32 v113, 0xbf737871, v81
	v_fmac_f32_e32 v111, 0xbf167918, v81
	v_fmac_f32_e32 v5, 0x3f167918, v81
	v_add_f32_e32 v30, v20, v30
	v_fmac_f32_e32 v82, 0x3f737871, v59
	v_add_f32_e32 v6, v6, v8
	v_fmac_f32_e32 v112, 0x3e9e377a, v32
	v_fmac_f32_e32 v113, 0xbf167918, v57
	;; [unrolled: 1-line block ×4, first 2 shown]
	v_add_f32_e32 v30, v16, v30
	v_fmac_f32_e32 v82, 0x3f167918, v36
	v_add_f32_e32 v6, v10, v6
	v_fmac_f32_e32 v113, 0x3e9e377a, v80
	v_mul_f32_e32 v8, 0x3f4f1bbd, v112
	v_mul_f32_e32 v10, 0x3e9e377a, v108
	;; [unrolled: 1-line block ×3, first 2 shown]
	v_add_f32_e32 v30, v12, v30
	v_fmac_f32_e32 v82, 0x3e9e377a, v14
	v_fmac_f32_e32 v8, 0x3f167918, v113
	;; [unrolled: 1-line block ×3, first 2 shown]
	v_fma_f32 v61, v5, s0, -v56
	v_mul_i32_i24_e32 v56, 10, v70
	v_add_f32_e32 v74, v6, v30
	v_add_f32_e32 v75, v82, v8
	;; [unrolled: 1-line block ×4, first 2 shown]
	v_lshl_add_u32 v56, v56, 2, 0
	ds_write2_b64 v56, v[74:75], v[76:77] offset1:1
	v_fmac_f32_e32 v105, 0xbf737871, v79
	v_sub_f32_e32 v77, v30, v6
	v_add_f32_e32 v6, v53, v37
	v_fmac_f32_e32 v105, 0xbf167918, v78
	v_add_f32_e32 v6, v55, v6
	v_sub_f32_e32 v75, v46, v10
	v_fmac_f32_e32 v105, 0x3e9e377a, v32
	v_add_f32_e32 v10, v51, v55
	v_add_f32_e32 v32, v49, v53
	;; [unrolled: 1-line block ×3, first 2 shown]
	v_fmac_f32_e32 v28, 0xbf737871, v59
	v_fmac_f32_e32 v109, 0x3f737871, v81
	v_add_f32_e32 v116, v49, v6
	v_add_f32_e32 v6, v47, v73
	v_fma_f32 v120, -0.5, v10, v37
	v_fmac_f32_e32 v37, -0.5, v32
	v_fmac_f32_e32 v28, 0xbf167918, v36
	v_fmac_f32_e32 v109, 0x3f167918, v57
	v_sub_f32_e32 v114, v54, v50
	v_sub_f32_e32 v115, v52, v48
	v_add_f32_e32 v6, v45, v6
	v_mov_b32_e32 v121, v37
	v_mov_b32_e32 v124, v120
	v_sub_f32_e32 v74, v82, v8
	v_fmac_f32_e32 v28, 0x3e9e377a, v14
	v_fmac_f32_e32 v109, 0x3e9e377a, v80
	v_mul_f32_e32 v8, 0x3f4f1bbd, v105
	v_sub_f32_e32 v14, v53, v55
	v_sub_f32_e32 v30, v55, v53
	;; [unrolled: 1-line block ×4, first 2 shown]
	v_add_f32_e32 v117, v43, v6
	s_mov_b32 s0, 0xbf737871
	v_mul_f32_e32 v6, 0x3e9e377a, v41
	v_fmac_f32_e32 v121, 0x3f737871, v114
	v_fmac_f32_e32 v37, 0xbf737871, v114
	;; [unrolled: 1-line block ×3, first 2 shown]
	v_fma_f32 v8, v109, s1, -v8
	v_fma_f32 v118, v40, s0, -v6
	v_add_f32_e32 v119, v36, v14
	v_add_f32_e32 v6, v46, v30
	v_fmac_f32_e32 v121, 0xbf167918, v115
	v_fmac_f32_e32 v37, 0x3f167918, v115
	v_mul_f32_e32 v122, 0xbf167918, v42
	v_mul_f32_e32 v123, 0xbf737871, v72
	v_fmac_f32_e32 v124, 0xbf167918, v114
	s_movk_i32 s1, 0xffdc
	v_fmac_f32_e32 v120, 0x3f737871, v115
	v_fmac_f32_e32 v121, 0x3e9e377a, v6
	;; [unrolled: 1-line block ×6, first 2 shown]
	v_mad_i32_i24 v60, v62, s1, v95
	v_mad_i32_i24 v86, v67, s1, v58
	;; [unrolled: 1-line block ×3, first 2 shown]
	v_fmac_f32_e32 v120, 0x3f167918, v114
	s_mov_b32 s1, 0xbf167918
	v_mul_f32_e32 v89, 0x3f4f1bbd, v89
	v_add_f32_e32 v76, v28, v8
	v_sub_f32_e32 v41, v28, v8
	v_sub_f32_e32 v40, v2, v61
	v_add_f32_e32 v91, v117, v116
	v_add_f32_e32 v92, v124, v122
	;; [unrolled: 1-line block ×4, first 2 shown]
	v_fmac_f32_e32 v120, 0x3e9e377a, v119
	v_fma_f32 v87, v87, s1, -v89
	ds_write2_b64 v56, v[76:77], v[74:75] offset0:2 offset1:3
	ds_write_b64 v56, v[40:41] offset:32
	s_waitcnt lgkmcnt(0)
	s_barrier
	v_add_u32_e32 v57, 0xc00, v60
	v_add_u32_e32 v59, 0x1800, v60
	ds_read_b32 v36, v86
	ds_read_b32 v30, v85
	v_add_u32_e32 v61, 0xe00, v60
	v_add_u32_e32 v72, 0x1a00, v60
	v_lshl_add_u32 v73, v63, 2, 0
	v_lshl_add_u32 v74, v65, 2, 0
	v_add_u32_e32 v75, 0x1000, v60
	v_add_u32_e32 v76, 0x1c00, v60
	v_lshl_add_u32 v77, v69, 2, 0
	v_lshl_add_u32 v28, v64, 2, 0
	v_add_u32_e32 v78, 0x1400, v60
	v_add_u32_e32 v79, 0x2000, v60
	v_lshl_add_u32 v80, v68, 2, 0
	v_lshl_add_u32 v81, v71, 2, 0
	v_add_u32_e32 v82, 0x1600, v60
	v_add_u32_e32 v83, 0x2200, v60
	v_lshl_add_u32 v84, v66, 2, 0
	ds_read_b32 v90, v60
	ds_read_b32 v88, v73
	ds_read_b32 v32, v74
	ds_read_b32 v14, v77
	ds_read_b32 v10, v28
	ds_read_b32 v8, v80
	ds_read_b32 v6, v81
	ds_read_b32 v2, v84
	ds_read2_b32 v[98:99], v57 offset0:42 offset1:123
	ds_read2_b32 v[106:107], v59 offset0:84 offset1:165
	;; [unrolled: 1-line block ×10, first 2 shown]
	s_waitcnt lgkmcnt(0)
	s_barrier
	ds_write2_b64 v95, v[91:92], v[93:94] offset1:1
	v_sub_f32_e32 v91, v124, v122
	v_sub_f32_e32 v92, v121, v123
	v_sub_f32_e32 v94, v116, v117
	v_add_f32_e32 v93, v120, v87
	ds_write2_b64 v95, v[93:94], v[91:92] offset0:2 offset1:3
	v_sub_f32_e32 v91, v37, v118
	v_add_f32_e32 v37, v25, v15
	v_add_f32_e32 v37, v27, v37
	v_sub_f32_e32 v92, v120, v87
	v_add_f32_e32 v87, v39, v27
	v_sub_f32_e32 v26, v26, v38
	v_sub_f32_e32 v38, v25, v27
	;; [unrolled: 1-line block ×4, first 2 shown]
	v_add_f32_e32 v24, v35, v25
	v_add_f32_e32 v25, v39, v37
	v_sub_f32_e32 v37, v35, v39
	v_sub_f32_e32 v39, v39, v35
	v_add_f32_e32 v35, v35, v25
	v_add_f32_e32 v25, v33, v101
	v_mul_f32_e32 v23, 0x3e9e377a, v23
	v_add_f32_e32 v33, v37, v38
	v_fma_f32 v37, -0.5, v87, v15
	v_fmac_f32_e32 v15, -0.5, v24
	v_add_f32_e32 v25, v31, v25
	v_fma_f32 v31, v22, s0, -v23
	v_add_f32_e32 v22, v39, v27
	v_mov_b32_e32 v27, v15
	v_mov_b32_e32 v87, v37
	v_fmac_f32_e32 v27, 0x3f737871, v26
	v_fmac_f32_e32 v15, 0xbf737871, v26
	v_fmac_f32_e32 v87, 0xbf737871, v34
	v_fmac_f32_e32 v27, 0xbf167918, v34
	v_fmac_f32_e32 v15, 0x3f167918, v34
	v_mul_f32_e32 v38, 0xbf167918, v103
	v_mul_f32_e32 v39, 0xbf737871, v97
	v_fmac_f32_e32 v87, 0xbf167918, v26
	v_add_f32_e32 v29, v29, v25
	v_fmac_f32_e32 v27, 0x3e9e377a, v22
	v_fmac_f32_e32 v15, 0x3e9e377a, v22
	;; [unrolled: 1-line block ×5, first 2 shown]
	v_add_f32_e32 v22, v29, v35
	v_add_f32_e32 v23, v87, v38
	;; [unrolled: 1-line block ×4, first 2 shown]
	ds_write_b64 v95, v[91:92] offset:32
	ds_write2_b64 v58, v[22:23], v[24:25] offset1:1
	v_mul_f32_e32 v24, 0x3f4f1bbd, v100
	v_sub_f32_e32 v23, v27, v39
	v_fma_f32 v25, v96, s1, -v24
	v_sub_f32_e32 v24, v15, v31
	v_sub_f32_e32 v27, v35, v29
	v_add_f32_e32 v15, v19, v3
	v_add_f32_e32 v29, v17, v21
	;; [unrolled: 1-line block ×4, first 2 shown]
	v_sub_f32_e32 v16, v20, v16
	v_sub_f32_e32 v20, v19, v21
	;; [unrolled: 1-line block ×4, first 2 shown]
	v_add_f32_e32 v18, v13, v19
	v_sub_f32_e32 v19, v13, v17
	v_add_f32_e32 v7, v7, v9
	v_mul_f32_e32 v5, 0x3e9e377a, v5
	v_fma_f32 v9, -0.5, v29, v3
	v_add_f32_e32 v15, v17, v15
	v_fma_f32 v5, v4, s0, -v5
	v_add_f32_e32 v4, v19, v20
	v_mov_b32_e32 v19, v9
	v_fmac_f32_e32 v3, -0.5, v18
	v_sub_f32_e32 v17, v17, v13
	v_add_f32_e32 v13, v13, v15
	v_fmac_f32_e32 v19, 0xbf737871, v12
	v_fmac_f32_e32 v9, 0x3f737871, v12
	v_mov_b32_e32 v15, v3
	v_fmac_f32_e32 v37, 0x3f737871, v34
	v_fmac_f32_e32 v19, 0xbf167918, v16
	;; [unrolled: 1-line block ×8, first 2 shown]
	v_add_f32_e32 v4, v17, v21
	v_fmac_f32_e32 v15, 0xbf167918, v12
	v_fmac_f32_e32 v3, 0x3f167918, v12
	v_mul_f32_e32 v16, 0xbf737871, v108
	v_fmac_f32_e32 v37, 0x3e9e377a, v33
	v_fmac_f32_e32 v15, 0x3e9e377a, v4
	;; [unrolled: 1-line block ×3, first 2 shown]
	v_mul_f32_e32 v12, 0xbf167918, v112
	v_fmac_f32_e32 v16, 0x3e9e377a, v111
	v_mul_f32_e32 v4, 0x3f4f1bbd, v109
	v_sub_f32_e32 v22, v87, v38
	v_add_f32_e32 v26, v37, v25
	v_add_f32_e32 v7, v11, v7
	v_fmac_f32_e32 v12, 0x3f4f1bbd, v113
	v_fma_f32 v21, v105, s1, -v4
	v_add_f32_e32 v4, v3, v5
	v_sub_f32_e32 v11, v3, v5
	v_add_f32_e32 v3, v15, v16
	s_movk_i32 s0, 0xcd
	v_sub_f32_e32 v25, v37, v25
	v_sub_f32_e32 v16, v15, v16
	;; [unrolled: 1-line block ×3, first 2 shown]
	v_add_f32_e32 v18, v19, v12
	v_add_f32_e32 v17, v7, v13
	v_sub_f32_e32 v20, v13, v7
	v_add_f32_e32 v19, v9, v21
	v_sub_f32_e32 v12, v9, v21
	ds_write2_b64 v58, v[26:27], v[22:23] offset0:2 offset1:3
	ds_write_b64 v58, v[24:25] offset:32
	ds_write2_b64 v56, v[17:18], v[3:4] offset1:1
	ds_write2_b64 v56, v[19:20], v[15:16] offset0:2 offset1:3
	ds_write_b64 v56, v[11:12] offset:32
	v_mul_lo_u16_sdwa v3, v62, s0 dst_sel:DWORD dst_unused:UNUSED_PAD src0_sel:BYTE_0 src1_sel:DWORD
	v_lshrrev_b16_e32 v12, 11, v3
	v_mul_lo_u16_e32 v3, 10, v12
	v_sub_u16_e32 v13, v62, v3
	v_mov_b32_e32 v18, 4
	v_lshlrev_b32_sdwa v3, v18, v13 dst_sel:DWORD dst_unused:UNUSED_PAD src0_sel:DWORD src1_sel:BYTE_0
	s_waitcnt lgkmcnt(0)
	s_barrier
	global_load_dwordx4 v[19:22], v3, s[8:9]
	v_mul_lo_u16_sdwa v3, v67, s0 dst_sel:DWORD dst_unused:UNUSED_PAD src0_sel:BYTE_0 src1_sel:DWORD
	v_lshrrev_b16_e32 v9, 11, v3
	v_mul_lo_u16_e32 v3, 10, v9
	v_sub_u16_e32 v11, v67, v3
	v_lshlrev_b32_sdwa v3, v18, v11 dst_sel:DWORD dst_unused:UNUSED_PAD src0_sel:DWORD src1_sel:BYTE_0
	global_load_dwordx4 v[24:27], v3, s[8:9]
	v_mul_lo_u16_sdwa v3, v70, s0 dst_sel:DWORD dst_unused:UNUSED_PAD src0_sel:BYTE_0 src1_sel:DWORD
	v_lshrrev_b16_e32 v15, 11, v3
	v_mul_lo_u16_e32 v3, 10, v15
	v_sub_u16_e32 v16, v70, v3
	v_lshlrev_b32_sdwa v3, v18, v16 dst_sel:DWORD dst_unused:UNUSED_PAD src0_sel:DWORD src1_sel:BYTE_0
	global_load_dwordx4 v[91:94], v3, s[8:9]
	ds_read2_b32 v[33:34], v57 offset0:42 offset1:123
	ds_read2_b32 v[37:38], v59 offset0:84 offset1:165
	s_mov_b32 s0, 0xcccd
	v_mul_u32_u24_sdwa v17, v63, s0 dst_sel:DWORD dst_unused:UNUSED_PAD src0_sel:WORD_0 src1_sel:DWORD
	v_lshrrev_b32_e32 v17, 19, v17
	v_mul_u32_u24_e32 v12, 0x78, v12
	v_mul_u32_u24_e32 v9, 0x78, v9
	s_waitcnt vmcnt(2) lgkmcnt(1)
	v_mul_f32_e32 v3, v33, v20
	v_mul_f32_e32 v4, v98, v20
	v_fma_f32 v3, v98, v19, -v3
	v_fmac_f32_e32 v4, v33, v19
	v_mul_lo_u16_e32 v19, 10, v17
	v_sub_u16_e32 v20, v63, v19
	v_lshlrev_b32_e32 v19, 4, v20
	global_load_dwordx4 v[95:98], v19, s[8:9]
	s_waitcnt vmcnt(2)
	v_mul_f32_e32 v19, v34, v25
	v_mul_f32_e32 v23, v99, v25
	s_waitcnt lgkmcnt(0)
	v_mul_f32_e32 v5, v37, v22
	v_mul_f32_e32 v7, v106, v22
	v_fma_f32 v22, v99, v24, -v19
	v_fmac_f32_e32 v23, v34, v24
	v_mul_u32_u24_sdwa v19, v65, s0 dst_sel:DWORD dst_unused:UNUSED_PAD src0_sel:WORD_0 src1_sel:DWORD
	v_mul_u32_u24_sdwa v24, v69, s0 dst_sel:DWORD dst_unused:UNUSED_PAD src0_sel:WORD_0 src1_sel:DWORD
	v_fma_f32 v5, v106, v21, -v5
	v_fmac_f32_e32 v7, v37, v21
	v_lshrrev_b32_e32 v21, 19, v19
	v_lshrrev_b32_e32 v35, 19, v24
	v_mul_lo_u16_e32 v19, 10, v21
	v_mul_lo_u16_e32 v24, 10, v35
	v_sub_u16_e32 v31, v65, v19
	v_sub_u16_e32 v39, v69, v24
	v_lshlrev_b32_e32 v19, 4, v31
	v_lshlrev_b32_e32 v24, 4, v39
	global_load_dwordx4 v[99:102], v19, s[8:9]
	global_load_dwordx4 v[103:106], v24, s[8:9]
	v_mul_f32_e32 v19, v38, v27
	ds_read2_b32 v[33:34], v61 offset0:76 offset1:157
	v_mul_f32_e32 v25, v107, v27
	v_fma_f32 v24, v107, v26, -v19
	v_fmac_f32_e32 v25, v38, v26
	v_mul_u32_u24_sdwa v26, v64, s0 dst_sel:DWORD dst_unused:UNUSED_PAD src0_sel:WORD_0 src1_sel:DWORD
	v_lshrrev_b32_e32 v87, 19, v26
	v_mul_lo_u16_e32 v26, 10, v87
	v_sub_u16_e32 v89, v64, v26
	s_waitcnt vmcnt(3) lgkmcnt(0)
	v_mul_f32_e32 v19, v33, v92
	v_lshlrev_b32_e32 v26, 4, v89
	global_load_dwordx4 v[107:110], v26, s[8:9]
	v_fma_f32 v26, v54, v91, -v19
	ds_read2_b32 v[37:38], v72 offset0:118 offset1:199
	v_mul_u32_u24_sdwa v19, v68, s0 dst_sel:DWORD dst_unused:UNUSED_PAD src0_sel:WORD_0 src1_sel:DWORD
	v_lshrrev_b32_e32 v119, 19, v19
	v_mul_lo_u16_e32 v19, 10, v119
	v_sub_u16_e32 v120, v68, v19
	v_lshlrev_b32_e32 v19, 4, v120
	global_load_dwordx4 v[111:114], v19, s[8:9]
	s_waitcnt lgkmcnt(0)
	v_mul_f32_e32 v19, v37, v94
	v_fma_f32 v29, v52, v93, -v19
	v_mul_u32_u24_sdwa v19, v71, s0 dst_sel:DWORD dst_unused:UNUSED_PAD src0_sel:WORD_0 src1_sel:DWORD
	v_mul_f32_e32 v27, v54, v92
	v_lshrrev_b32_e32 v54, 19, v19
	v_mul_lo_u16_e32 v19, 10, v54
	v_sub_u16_e32 v121, v71, v19
	v_lshlrev_b32_e32 v19, 4, v121
	global_load_dwordx4 v[115:118], v19, s[8:9]
	v_mul_u32_u24_sdwa v19, v66, s0 dst_sel:DWORD dst_unused:UNUSED_PAD src0_sel:WORD_0 src1_sel:DWORD
	v_lshrrev_b32_e32 v122, 19, v19
	v_mul_lo_u16_e32 v19, 10, v122
	v_sub_u16_e32 v123, v66, v19
	v_mul_f32_e32 v52, v52, v94
	v_lshlrev_b32_e32 v19, 4, v123
	v_fmac_f32_e32 v27, v33, v91
	v_fmac_f32_e32 v52, v37, v93
	global_load_dwordx4 v[91:94], v19, s[8:9]
	s_movk_i32 s0, 0x89
	s_waitcnt vmcnt(6)
	v_mul_f32_e32 v19, v34, v96
	v_fma_f32 v124, v55, v95, -v19
	v_mul_f32_e32 v55, v55, v96
	v_fmac_f32_e32 v55, v34, v95
	ds_read2_b32 v[33:34], v75 offset0:110 offset1:191
	v_mul_f32_e32 v96, v53, v98
	v_mul_f32_e32 v19, v38, v98
	v_fmac_f32_e32 v96, v38, v97
	ds_read2_b32 v[37:38], v76 offset0:152 offset1:233
	v_fma_f32 v95, v53, v97, -v19
	s_waitcnt vmcnt(5) lgkmcnt(1)
	v_mul_f32_e32 v19, v33, v100
	v_fma_f32 v97, v50, v99, -v19
	s_waitcnt lgkmcnt(0)
	v_mul_f32_e32 v19, v37, v102
	v_mul_f32_e32 v50, v50, v100
	v_fma_f32 v98, v48, v101, -v19
	s_waitcnt vmcnt(4)
	v_mul_f32_e32 v19, v34, v104
	v_fmac_f32_e32 v50, v33, v99
	v_fma_f32 v99, v51, v103, -v19
	v_mul_f32_e32 v51, v51, v104
	v_mul_f32_e32 v19, v38, v106
	;; [unrolled: 1-line block ×3, first 2 shown]
	v_fmac_f32_e32 v51, v34, v103
	ds_read2_b32 v[33:34], v78 offset0:16 offset1:97
	v_fma_f32 v100, v49, v105, -v19
	v_mul_f32_e32 v49, v49, v106
	v_fmac_f32_e32 v48, v37, v101
	v_fmac_f32_e32 v49, v38, v105
	ds_read2_b32 v[37:38], v79 offset0:58 offset1:139
	s_waitcnt vmcnt(3) lgkmcnt(1)
	v_mul_f32_e32 v19, v33, v108
	v_fma_f32 v101, v46, v107, -v19
	v_mul_f32_e32 v46, v46, v108
	v_fmac_f32_e32 v46, v33, v107
	s_waitcnt lgkmcnt(0)
	v_mul_f32_e32 v19, v37, v110
	v_fma_f32 v104, v44, v109, -v19
	s_waitcnt vmcnt(2)
	v_mul_f32_e32 v19, v34, v112
	v_fma_f32 v105, v47, v111, -v19
	v_mul_f32_e32 v47, v47, v112
	v_mul_f32_e32 v19, v38, v114
	;; [unrolled: 1-line block ×3, first 2 shown]
	v_fmac_f32_e32 v47, v34, v111
	ds_read2_b32 v[33:34], v82 offset0:50 offset1:131
	v_fma_f32 v112, v45, v113, -v19
	v_mul_f32_e32 v45, v45, v114
	v_fmac_f32_e32 v44, v37, v109
	v_fmac_f32_e32 v45, v38, v113
	ds_read2_b32 v[37:38], v83 offset0:92 offset1:173
	s_waitcnt vmcnt(1) lgkmcnt(1)
	v_mul_f32_e32 v19, v33, v116
	v_fma_f32 v113, v42, v115, -v19
	v_mul_f32_e32 v42, v42, v116
	v_fmac_f32_e32 v42, v33, v115
	s_waitcnt lgkmcnt(0)
	v_mul_f32_e32 v19, v37, v118
	v_fma_f32 v33, v40, v117, -v19
	s_waitcnt vmcnt(0)
	v_mul_f32_e32 v19, v34, v92
	v_fma_f32 v114, v43, v91, -v19
	v_mul_f32_e32 v43, v43, v92
	v_mul_f32_e32 v19, v38, v94
	;; [unrolled: 1-line block ×3, first 2 shown]
	v_fmac_f32_e32 v43, v34, v91
	v_fma_f32 v34, v41, v93, -v19
	v_add_f32_e32 v19, v3, v5
	v_fmac_f32_e32 v40, v37, v117
	v_add_f32_e32 v37, v90, v3
	v_fmac_f32_e32 v90, -0.5, v19
	v_mov_b32_e32 v19, 2
	v_mul_f32_e32 v41, v41, v94
	v_lshlrev_b32_sdwa v13, v19, v13 dst_sel:DWORD dst_unused:UNUSED_PAD src0_sel:DWORD src1_sel:BYTE_0
	v_fmac_f32_e32 v41, v38, v93
	v_add3_u32 v38, 0, v12, v13
	v_add_f32_e32 v12, v37, v5
	v_sub_f32_e32 v13, v4, v7
	v_mov_b32_e32 v37, v90
	v_fmac_f32_e32 v37, 0x3f5db3d7, v13
	v_fmac_f32_e32 v90, 0xbf5db3d7, v13
	v_add_f32_e32 v13, v22, v24
	ds_read_b32 v91, v86
	ds_read_b32 v92, v85
	;; [unrolled: 1-line block ×10, first 2 shown]
	s_waitcnt lgkmcnt(0)
	s_barrier
	ds_write2_b32 v38, v12, v37 offset1:10
	v_add_f32_e32 v12, v36, v22
	v_fmac_f32_e32 v36, -0.5, v13
	v_lshlrev_b32_sdwa v11, v19, v11 dst_sel:DWORD dst_unused:UNUSED_PAD src0_sel:DWORD src1_sel:BYTE_0
	ds_write_b32 v38, v90 offset:80
	v_add3_u32 v90, 0, v9, v11
	v_add_f32_e32 v9, v12, v24
	v_sub_f32_e32 v11, v23, v25
	v_mov_b32_e32 v12, v36
	v_fmac_f32_e32 v12, 0x3f5db3d7, v11
	v_fmac_f32_e32 v36, 0xbf5db3d7, v11
	v_add_f32_e32 v11, v26, v29
	ds_write2_b32 v90, v9, v12 offset1:10
	v_add_f32_e32 v9, v30, v26
	v_fmac_f32_e32 v30, -0.5, v11
	v_mul_u32_u24_e32 v11, 0x78, v15
	v_lshlrev_b32_sdwa v12, v19, v16 dst_sel:DWORD dst_unused:UNUSED_PAD src0_sel:DWORD src1_sel:BYTE_0
	v_add3_u32 v127, 0, v11, v12
	v_sub_f32_e32 v11, v27, v52
	v_mov_b32_e32 v12, v30
	v_add_f32_e32 v9, v9, v29
	v_fmac_f32_e32 v12, 0x3f5db3d7, v11
	v_fmac_f32_e32 v30, 0xbf5db3d7, v11
	v_add_f32_e32 v11, v124, v95
	ds_write_b32 v90, v36 offset:80
	ds_write2_b32 v127, v9, v12 offset1:10
	v_add_f32_e32 v9, v88, v124
	v_fmac_f32_e32 v88, -0.5, v11
	v_mul_u32_u24_e32 v11, 0x78, v17
	v_lshlrev_b32_e32 v12, 2, v20
	ds_write_b32 v127, v30 offset:80
	v_add3_u32 v30, 0, v11, v12
	v_sub_f32_e32 v11, v55, v96
	v_mov_b32_e32 v12, v88
	v_add_f32_e32 v9, v9, v95
	v_fmac_f32_e32 v12, 0x3f5db3d7, v11
	v_fmac_f32_e32 v88, 0xbf5db3d7, v11
	v_add_f32_e32 v11, v97, v98
	ds_write2_b32 v30, v9, v12 offset1:10
	v_add_f32_e32 v9, v32, v97
	v_fmac_f32_e32 v32, -0.5, v11
	v_mul_u32_u24_e32 v11, 0x78, v21
	v_lshlrev_b32_e32 v12, 2, v31
	v_add3_u32 v31, 0, v11, v12
	v_sub_f32_e32 v11, v50, v48
	v_mov_b32_e32 v12, v32
	v_add_f32_e32 v9, v9, v98
	v_fmac_f32_e32 v12, 0x3f5db3d7, v11
	v_fmac_f32_e32 v32, 0xbf5db3d7, v11
	v_add_f32_e32 v11, v99, v100
	ds_write_b32 v30, v88 offset:80
	ds_write2_b32 v31, v9, v12 offset1:10
	v_add_f32_e32 v9, v14, v99
	v_fmac_f32_e32 v14, -0.5, v11
	v_mul_u32_u24_e32 v11, 0x78, v35
	v_lshlrev_b32_e32 v12, 2, v39
	ds_write_b32 v31, v32 offset:80
	v_add3_u32 v32, 0, v11, v12
	v_sub_f32_e32 v11, v51, v49
	v_mov_b32_e32 v12, v14
	v_add_f32_e32 v9, v9, v100
	v_fmac_f32_e32 v12, 0x3f5db3d7, v11
	v_fmac_f32_e32 v14, 0xbf5db3d7, v11
	v_add_f32_e32 v11, v101, v104
	ds_write2_b32 v32, v9, v12 offset1:10
	v_add_f32_e32 v9, v10, v101
	v_fmac_f32_e32 v10, -0.5, v11
	v_mul_u32_u24_e32 v11, 0x78, v87
	v_lshlrev_b32_e32 v12, 2, v89
	v_add3_u32 v35, 0, v11, v12
	v_sub_f32_e32 v11, v46, v44
	v_mov_b32_e32 v12, v10
	v_add_f32_e32 v9, v9, v104
	v_fmac_f32_e32 v12, 0x3f5db3d7, v11
	v_fmac_f32_e32 v10, 0xbf5db3d7, v11
	v_add_f32_e32 v11, v105, v112
	ds_write_b32 v32, v14 offset:80
	ds_write2_b32 v35, v9, v12 offset1:10
	v_add_f32_e32 v9, v8, v105
	v_fmac_f32_e32 v8, -0.5, v11
	ds_write_b32 v35, v10 offset:80
	v_mul_u32_u24_e32 v10, 0x78, v119
	v_lshlrev_b32_e32 v11, 2, v120
	v_add3_u32 v39, 0, v10, v11
	v_sub_f32_e32 v10, v47, v45
	v_mov_b32_e32 v11, v8
	v_add_f32_e32 v9, v9, v112
	v_fmac_f32_e32 v11, 0x3f5db3d7, v10
	v_fmac_f32_e32 v8, 0xbf5db3d7, v10
	v_add_f32_e32 v10, v113, v33
	ds_write2_b32 v39, v9, v11 offset1:10
	v_add_f32_e32 v9, v6, v113
	v_fmac_f32_e32 v6, -0.5, v10
	ds_write_b32 v39, v8 offset:80
	v_mul_u32_u24_e32 v8, 0x78, v54
	v_lshlrev_b32_e32 v10, 2, v121
	v_add3_u32 v87, 0, v8, v10
	v_add_f32_e32 v8, v9, v33
	v_sub_f32_e32 v9, v42, v40
	v_mov_b32_e32 v10, v6
	v_fmac_f32_e32 v10, 0x3f5db3d7, v9
	v_fmac_f32_e32 v6, 0xbf5db3d7, v9
	v_add_f32_e32 v9, v114, v34
	ds_write2_b32 v87, v8, v10 offset1:10
	v_add_f32_e32 v8, v2, v114
	v_fmac_f32_e32 v2, -0.5, v9
	ds_write_b32 v87, v6 offset:80
	v_mul_u32_u24_e32 v6, 0x78, v122
	v_lshlrev_b32_e32 v9, 2, v123
	v_add3_u32 v88, 0, v6, v9
	v_add_f32_e32 v6, v8, v34
	v_sub_f32_e32 v8, v43, v41
	v_mov_b32_e32 v9, v2
	v_fmac_f32_e32 v9, 0x3f5db3d7, v8
	ds_write2_b32 v88, v6, v9 offset1:10
	v_add_f32_e32 v6, v93, v4
	v_add_f32_e32 v4, v4, v7
	v_fmac_f32_e32 v93, -0.5, v4
	v_sub_f32_e32 v119, v3, v5
	v_mov_b32_e32 v120, v93
	v_add_f32_e32 v89, v6, v7
	v_fmac_f32_e32 v2, 0xbf5db3d7, v8
	v_fmac_f32_e32 v120, 0xbf5db3d7, v119
	v_fmac_f32_e32 v93, 0x3f5db3d7, v119
	ds_write_b32 v88, v2 offset:80
	s_waitcnt lgkmcnt(0)
	s_barrier
	ds_read_b32 v20, v86
	ds_read_b32 v17, v85
	;; [unrolled: 1-line block ×10, first 2 shown]
	ds_read2_b32 v[36:37], v57 offset0:42 offset1:123
	ds_read2_b32 v[53:54], v59 offset0:84 offset1:165
	;; [unrolled: 1-line block ×10, first 2 shown]
	s_waitcnt lgkmcnt(0)
	s_barrier
	ds_write2_b32 v38, v89, v120 offset1:10
	ds_write_b32 v38, v93 offset:80
	v_add_f32_e32 v38, v91, v23
	v_add_f32_e32 v23, v23, v25
	v_fmac_f32_e32 v91, -0.5, v23
	v_sub_f32_e32 v22, v22, v24
	v_mov_b32_e32 v23, v91
	v_add_f32_e32 v38, v38, v25
	v_fmac_f32_e32 v23, 0xbf5db3d7, v22
	ds_write2_b32 v90, v38, v23 offset1:10
	v_add_f32_e32 v23, v27, v52
	v_fmac_f32_e32 v91, 0x3f5db3d7, v22
	v_add_f32_e32 v22, v92, v27
	v_fmac_f32_e32 v92, -0.5, v23
	v_sub_f32_e32 v23, v26, v29
	v_mov_b32_e32 v24, v92
	v_add_f32_e32 v22, v22, v52
	v_fmac_f32_e32 v24, 0xbf5db3d7, v23
	v_fmac_f32_e32 v92, 0x3f5db3d7, v23
	v_add_f32_e32 v23, v55, v96
	ds_write_b32 v90, v91 offset:80
	ds_write2_b32 v127, v22, v24 offset1:10
	v_add_f32_e32 v22, v94, v55
	v_fmac_f32_e32 v94, -0.5, v23
	v_sub_f32_e32 v23, v124, v95
	v_mov_b32_e32 v24, v94
	v_add_f32_e32 v22, v22, v96
	v_fmac_f32_e32 v24, 0xbf5db3d7, v23
	v_fmac_f32_e32 v94, 0x3f5db3d7, v23
	v_add_f32_e32 v23, v50, v48
	ds_write_b32 v127, v92 offset:80
	ds_write2_b32 v30, v22, v24 offset1:10
	;; [unrolled: 10-line block ×4, first 2 shown]
	v_add_f32_e32 v22, v117, v46
	v_fmac_f32_e32 v117, -0.5, v23
	v_sub_f32_e32 v23, v101, v104
	v_mov_b32_e32 v24, v117
	v_add_f32_e32 v25, v47, v45
	v_fmac_f32_e32 v24, 0xbf5db3d7, v23
	v_fmac_f32_e32 v117, 0x3f5db3d7, v23
	v_add_f32_e32 v23, v118, v47
	v_fmac_f32_e32 v118, -0.5, v25
	v_sub_f32_e32 v25, v105, v112
	v_mov_b32_e32 v26, v118
	v_add_f32_e32 v27, v42, v40
	v_fmac_f32_e32 v26, 0xbf5db3d7, v25
	v_fmac_f32_e32 v118, 0x3f5db3d7, v25
	;; [unrolled: 7-line block ×3, first 2 shown]
	v_add_f32_e32 v27, v126, v43
	v_fmac_f32_e32 v126, -0.5, v30
	v_add_f32_e32 v22, v22, v44
	v_sub_f32_e32 v30, v114, v34
	v_mov_b32_e32 v31, v126
	ds_write_b32 v32, v116 offset:80
	v_add_f32_e32 v23, v23, v45
	v_add_f32_e32 v25, v25, v40
	v_add_f32_e32 v27, v27, v41
	v_fmac_f32_e32 v31, 0xbf5db3d7, v30
	v_fmac_f32_e32 v126, 0x3f5db3d7, v30
	ds_write2_b32 v35, v22, v24 offset1:10
	ds_write_b32 v35, v117 offset:80
	ds_write2_b32 v39, v23, v26 offset1:10
	ds_write_b32 v39, v118 offset:80
	;; [unrolled: 2-line block ×4, first 2 shown]
	v_mul_lo_u16_sdwa v22, v62, s0 dst_sel:DWORD dst_unused:UNUSED_PAD src0_sel:BYTE_0 src1_sel:DWORD
	v_lshrrev_b16_e32 v29, 12, v22
	v_mul_lo_u16_e32 v22, 30, v29
	v_sub_u16_e32 v30, v62, v22
	v_lshlrev_b32_sdwa v22, v18, v30 dst_sel:DWORD dst_unused:UNUSED_PAD src0_sel:DWORD src1_sel:BYTE_0
	s_waitcnt lgkmcnt(0)
	s_barrier
	global_load_dwordx4 v[32:35], v22, s[8:9] offset:160
	v_mul_lo_u16_sdwa v22, v67, s0 dst_sel:DWORD dst_unused:UNUSED_PAD src0_sel:BYTE_0 src1_sel:DWORD
	v_lshrrev_b16_e32 v26, 12, v22
	v_mul_lo_u16_e32 v22, 30, v26
	v_sub_u16_e32 v27, v67, v22
	v_lshlrev_b32_sdwa v22, v18, v27 dst_sel:DWORD dst_unused:UNUSED_PAD src0_sel:DWORD src1_sel:BYTE_0
	global_load_dwordx4 v[41:44], v22, s[8:9] offset:160
	v_mul_lo_u16_sdwa v22, v70, s0 dst_sel:DWORD dst_unused:UNUSED_PAD src0_sel:BYTE_0 src1_sel:DWORD
	v_lshrrev_b16_e32 v31, 12, v22
	v_mul_lo_u16_e32 v22, 30, v31
	v_sub_u16_e32 v38, v70, v22
	v_lshlrev_b32_sdwa v22, v18, v38 dst_sel:DWORD dst_unused:UNUSED_PAD src0_sel:DWORD src1_sel:BYTE_0
	global_load_dwordx4 v[45:48], v22, s[8:9] offset:160
	s_mov_b32 s0, 0x8889
	v_mul_u32_u24_sdwa v22, v63, s0 dst_sel:DWORD dst_unused:UNUSED_PAD src0_sel:WORD_0 src1_sel:DWORD
	v_lshrrev_b32_e32 v39, 20, v22
	v_mul_lo_u16_e32 v22, 30, v39
	v_sub_u16_e32 v40, v63, v22
	v_lshlrev_b32_e32 v22, 4, v40
	global_load_dwordx4 v[49:52], v22, s[8:9] offset:160
	ds_read2_b32 v[87:88], v57 offset0:42 offset1:123
	ds_read2_b32 v[90:91], v59 offset0:84 offset1:165
	;; [unrolled: 1-line block ×3, first 2 shown]
	s_waitcnt vmcnt(3) lgkmcnt(2)
	v_mul_f32_e32 v22, v87, v33
	v_mul_f32_e32 v23, v36, v33
	v_fma_f32 v22, v36, v32, -v22
	v_fmac_f32_e32 v23, v87, v32
	v_mul_u32_u24_sdwa v36, v65, s0 dst_sel:DWORD dst_unused:UNUSED_PAD src0_sel:WORD_0 src1_sel:DWORD
	v_lshrrev_b32_e32 v55, 20, v36
	s_waitcnt vmcnt(2)
	v_mul_f32_e32 v32, v88, v42
	v_mul_f32_e32 v33, v37, v42
	v_fma_f32 v32, v37, v41, -v32
	v_fmac_f32_e32 v33, v88, v41
	v_mul_u32_u24_sdwa v41, v64, s0 dst_sel:DWORD dst_unused:UNUSED_PAD src0_sel:WORD_0 src1_sel:DWORD
	v_lshrrev_b32_e32 v117, 20, v41
	v_mul_lo_u16_e32 v36, 30, v55
	v_mul_lo_u16_e32 v41, 30, v117
	v_sub_u16_e32 v114, v65, v36
	v_sub_u16_e32 v118, v64, v41
	v_mul_f32_e32 v25, v53, v35
	v_lshlrev_b32_e32 v36, 4, v114
	v_lshlrev_b32_e32 v41, 4, v118
	s_waitcnt lgkmcnt(1)
	v_mul_f32_e32 v24, v90, v35
	v_fmac_f32_e32 v25, v90, v34
	global_load_dwordx4 v[87:90], v36, s[8:9] offset:160
	global_load_dwordx4 v[95:98], v41, s[8:9] offset:160
	v_mul_u32_u24_sdwa v36, v69, s0 dst_sel:DWORD dst_unused:UNUSED_PAD src0_sel:WORD_0 src1_sel:DWORD
	v_lshrrev_b32_e32 v115, 20, v36
	v_mul_lo_u16_e32 v36, 30, v115
	v_fma_f32 v24, v53, v34, -v24
	v_mul_f32_e32 v34, v91, v44
	v_sub_u16_e32 v116, v69, v36
	v_fma_f32 v34, v54, v43, -v34
	v_mul_f32_e32 v35, v54, v44
	ds_read2_b32 v[53:54], v61 offset0:76 offset1:157
	v_lshlrev_b32_e32 v36, 4, v116
	v_fmac_f32_e32 v35, v91, v43
	global_load_dwordx4 v[91:94], v36, s[8:9] offset:160
	s_waitcnt vmcnt(4)
	v_mul_f32_e32 v37, v102, v46
	v_mul_u32_u24_sdwa v42, v68, s0 dst_sel:DWORD dst_unused:UNUSED_PAD src0_sel:WORD_0 src1_sel:DWORD
	s_waitcnt lgkmcnt(0)
	v_mul_f32_e32 v36, v53, v46
	v_fmac_f32_e32 v37, v53, v45
	v_lshrrev_b32_e32 v53, 20, v42
	v_mul_lo_u16_e32 v42, 30, v53
	v_sub_u16_e32 v119, v68, v42
	v_lshlrev_b32_e32 v42, 4, v119
	v_fma_f32 v36, v102, v45, -v36
	global_load_dwordx4 v[43:46], v42, s[8:9] offset:160
	v_mul_f32_e32 v41, v112, v48
	v_mul_f32_e32 v42, v106, v48
	v_mul_u32_u24_sdwa v48, v71, s0 dst_sel:DWORD dst_unused:UNUSED_PAD src0_sel:WORD_0 src1_sel:DWORD
	v_fmac_f32_e32 v42, v112, v47
	v_lshrrev_b32_e32 v112, 20, v48
	v_mul_lo_u16_e32 v48, 30, v112
	v_fma_f32 v41, v106, v47, -v41
	s_waitcnt vmcnt(4)
	v_mul_f32_e32 v47, v54, v50
	v_sub_u16_e32 v120, v71, v48
	v_lshlrev_b32_e32 v48, 4, v120
	v_fma_f32 v121, v103, v49, -v47
	v_mul_u32_u24_sdwa v47, v66, s0 dst_sel:DWORD dst_unused:UNUSED_PAD src0_sel:WORD_0 src1_sel:DWORD
	global_load_dwordx4 v[99:102], v48, s[8:9] offset:160
	v_lshrrev_b32_e32 v123, 20, v47
	v_mul_lo_u16_e32 v47, 30, v123
	v_sub_u16_e32 v124, v66, v47
	v_lshlrev_b32_e32 v47, 4, v124
	v_mul_f32_e32 v122, v103, v50
	global_load_dwordx4 v[103:106], v47, s[8:9] offset:160
	v_mul_f32_e32 v47, v113, v52
	v_fma_f32 v125, v107, v51, -v47
	ds_read2_b32 v[47:48], v75 offset0:110 offset1:191
	v_fmac_f32_e32 v122, v54, v49
	ds_read2_b32 v[49:50], v76 offset0:152 offset1:233
	v_mul_f32_e32 v52, v107, v52
	v_fmac_f32_e32 v52, v113, v51
	s_waitcnt vmcnt(5) lgkmcnt(1)
	v_mul_f32_e32 v51, v47, v88
	v_mul_f32_e32 v88, v108, v88
	v_fmac_f32_e32 v88, v47, v87
	s_waitcnt lgkmcnt(0)
	v_mul_f32_e32 v47, v49, v90
	v_fma_f32 v51, v108, v87, -v51
	v_fma_f32 v87, v110, v89, -v47
	v_mul_f32_e32 v90, v110, v90
	v_fmac_f32_e32 v90, v49, v89
	s_waitcnt vmcnt(3)
	v_mul_f32_e32 v47, v48, v92
	v_mul_f32_e32 v108, v109, v92
	v_fma_f32 v89, v109, v91, -v47
	v_fmac_f32_e32 v108, v48, v91
	v_mul_f32_e32 v49, v50, v94
	ds_read2_b32 v[47:48], v78 offset0:16 offset1:97
	v_mul_f32_e32 v94, v111, v94
	v_fma_f32 v109, v111, v93, -v49
	v_fmac_f32_e32 v94, v50, v93
	ds_read2_b32 v[49:50], v79 offset0:58 offset1:139
	s_waitcnt lgkmcnt(1)
	v_mul_f32_e32 v54, v47, v96
	v_fma_f32 v93, v8, v95, -v54
	v_mul_f32_e32 v96, v8, v96
	v_fmac_f32_e32 v96, v47, v95
	s_waitcnt lgkmcnt(0)
	v_mul_f32_e32 v8, v49, v98
	v_fma_f32 v47, v6, v97, -v8
	v_mul_f32_e32 v95, v6, v98
	s_waitcnt vmcnt(2)
	v_mul_f32_e32 v6, v48, v44
	v_fmac_f32_e32 v95, v49, v97
	v_fma_f32 v49, v9, v43, -v6
	v_mul_f32_e32 v44, v9, v44
	ds_read2_b32 v[8:9], v82 offset0:50 offset1:131
	v_mul_f32_e32 v6, v50, v46
	v_fmac_f32_e32 v44, v48, v43
	v_fma_f32 v43, v7, v45, -v6
	v_mul_f32_e32 v46, v7, v46
	ds_read2_b32 v[6:7], v83 offset0:92 offset1:173
	v_fmac_f32_e32 v46, v50, v45
	s_waitcnt vmcnt(1) lgkmcnt(1)
	v_mul_f32_e32 v45, v8, v100
	v_fma_f32 v45, v4, v99, -v45
	v_mul_f32_e32 v4, v4, v100
	v_fmac_f32_e32 v4, v8, v99
	s_waitcnt lgkmcnt(0)
	v_mul_f32_e32 v8, v6, v102
	v_fma_f32 v48, v2, v101, -v8
	v_mul_f32_e32 v2, v2, v102
	v_fmac_f32_e32 v2, v6, v101
	s_waitcnt vmcnt(0)
	v_mul_f32_e32 v6, v9, v104
	v_fma_f32 v50, v5, v103, -v6
	v_mul_f32_e32 v6, v7, v106
	v_fma_f32 v97, v3, v105, -v6
	v_mul_f32_e32 v3, v3, v106
	v_fmac_f32_e32 v3, v7, v105
	v_add_f32_e32 v7, v22, v24
	v_add_f32_e32 v6, v21, v22
	v_fmac_f32_e32 v21, -0.5, v7
	v_mul_u32_u24_e32 v7, 0x168, v29
	v_lshlrev_b32_sdwa v8, v19, v30 dst_sel:DWORD dst_unused:UNUSED_PAD src0_sel:DWORD src1_sel:BYTE_0
	v_add3_u32 v98, 0, v7, v8
	v_sub_f32_e32 v7, v23, v25
	v_mov_b32_e32 v8, v21
	v_add_f32_e32 v6, v6, v24
	v_fmac_f32_e32 v8, 0x3f5db3d7, v7
	v_fmac_f32_e32 v21, 0xbf5db3d7, v7
	v_add_f32_e32 v7, v32, v34
	v_mul_f32_e32 v5, v5, v104
	ds_read_b32 v99, v86
	ds_read_b32 v100, v85
	;; [unrolled: 1-line block ×10, first 2 shown]
	s_waitcnt lgkmcnt(0)
	s_barrier
	ds_write2_b32 v98, v6, v8 offset1:30
	v_add_f32_e32 v6, v20, v32
	v_fmac_f32_e32 v20, -0.5, v7
	v_mul_u32_u24_e32 v7, 0x168, v26
	v_lshlrev_b32_sdwa v8, v19, v27 dst_sel:DWORD dst_unused:UNUSED_PAD src0_sel:DWORD src1_sel:BYTE_0
	v_add3_u32 v128, 0, v7, v8
	v_sub_f32_e32 v7, v33, v35
	v_mov_b32_e32 v8, v20
	v_add_f32_e32 v6, v6, v34
	v_fmac_f32_e32 v8, 0x3f5db3d7, v7
	v_fmac_f32_e32 v20, 0xbf5db3d7, v7
	v_add_f32_e32 v7, v36, v41
	ds_write_b32 v98, v21 offset:240
	ds_write2_b32 v128, v6, v8 offset1:30
	v_add_f32_e32 v6, v17, v36
	v_fmac_f32_e32 v17, -0.5, v7
	v_mul_u32_u24_e32 v7, 0x168, v31
	v_lshlrev_b32_sdwa v8, v19, v38 dst_sel:DWORD dst_unused:UNUSED_PAD src0_sel:DWORD src1_sel:BYTE_0
	ds_write_b32 v128, v20 offset:240
	v_add3_u32 v20, 0, v7, v8
	v_sub_f32_e32 v7, v37, v42
	v_mov_b32_e32 v8, v17
	v_add_f32_e32 v6, v6, v41
	v_fmac_f32_e32 v8, 0x3f5db3d7, v7
	v_fmac_f32_e32 v17, 0xbf5db3d7, v7
	v_add_f32_e32 v7, v121, v125
	ds_write2_b32 v20, v6, v8 offset1:30
	v_add_f32_e32 v6, v16, v121
	v_fmac_f32_e32 v16, -0.5, v7
	v_mul_u32_u24_e32 v7, 0x168, v39
	v_lshlrev_b32_e32 v8, 2, v40
	v_add3_u32 v38, 0, v7, v8
	v_sub_f32_e32 v7, v122, v52
	v_mov_b32_e32 v8, v16
	v_add_f32_e32 v6, v6, v125
	v_fmac_f32_e32 v8, 0x3f5db3d7, v7
	v_fmac_f32_e32 v16, 0xbf5db3d7, v7
	v_add_f32_e32 v7, v51, v87
	ds_write_b32 v20, v17 offset:240
	ds_write2_b32 v38, v6, v8 offset1:30
	v_add_f32_e32 v6, v15, v51
	v_fmac_f32_e32 v15, -0.5, v7
	v_mul_u32_u24_e32 v7, 0x168, v55
	v_lshlrev_b32_e32 v8, 2, v114
	v_add3_u32 v39, 0, v7, v8
	v_sub_f32_e32 v7, v88, v90
	v_mov_b32_e32 v8, v15
	v_add_f32_e32 v6, v6, v87
	v_fmac_f32_e32 v8, 0x3f5db3d7, v7
	v_fmac_f32_e32 v15, 0xbf5db3d7, v7
	v_add_f32_e32 v7, v89, v109
	ds_write_b32 v38, v16 offset:240
	ds_write2_b32 v39, v6, v8 offset1:30
	v_add_f32_e32 v6, v14, v89
	v_fmac_f32_e32 v14, -0.5, v7
	v_mul_u32_u24_e32 v7, 0x168, v115
	v_lshlrev_b32_e32 v8, 2, v116
	v_add3_u32 v40, 0, v7, v8
	v_sub_f32_e32 v7, v108, v94
	v_mov_b32_e32 v8, v14
	v_add_f32_e32 v6, v6, v109
	v_fmac_f32_e32 v8, 0x3f5db3d7, v7
	v_fmac_f32_e32 v14, 0xbf5db3d7, v7
	v_add_f32_e32 v7, v93, v47
	ds_write_b32 v39, v15 offset:240
	ds_write2_b32 v40, v6, v8 offset1:30
	v_add_f32_e32 v6, v13, v93
	v_fmac_f32_e32 v13, -0.5, v7
	v_mul_u32_u24_e32 v7, 0x168, v117
	v_lshlrev_b32_e32 v8, 2, v118
	v_add3_u32 v114, 0, v7, v8
	v_sub_f32_e32 v7, v96, v95
	v_mov_b32_e32 v8, v13
	v_add_f32_e32 v6, v6, v47
	v_fmac_f32_e32 v8, 0x3f5db3d7, v7
	v_fmac_f32_e32 v13, 0xbf5db3d7, v7
	v_add_f32_e32 v7, v49, v43
	ds_write_b32 v40, v14 offset:240
	ds_write2_b32 v114, v6, v8 offset1:30
	v_add_f32_e32 v6, v12, v49
	v_fmac_f32_e32 v12, -0.5, v7
	v_mul_u32_u24_e32 v7, 0x168, v53
	v_lshlrev_b32_e32 v8, 2, v119
	v_add3_u32 v53, 0, v7, v8
	v_sub_f32_e32 v7, v44, v46
	v_mov_b32_e32 v8, v12
	v_add_f32_e32 v6, v6, v43
	v_fmac_f32_e32 v8, 0x3f5db3d7, v7
	v_fmac_f32_e32 v12, 0xbf5db3d7, v7
	v_add_f32_e32 v7, v45, v48
	ds_write_b32 v114, v13 offset:240
	ds_write2_b32 v53, v6, v8 offset1:30
	v_add_f32_e32 v6, v11, v45
	v_fmac_f32_e32 v11, -0.5, v7
	v_mul_u32_u24_e32 v7, 0x168, v112
	v_lshlrev_b32_e32 v8, 2, v120
	v_add3_u32 v112, 0, v7, v8
	v_sub_f32_e32 v7, v4, v2
	v_mov_b32_e32 v8, v11
	v_add_f32_e32 v6, v6, v48
	v_fmac_f32_e32 v8, 0x3f5db3d7, v7
	v_fmac_f32_e32 v11, 0xbf5db3d7, v7
	v_add_f32_e32 v7, v50, v97
	v_fmac_f32_e32 v5, v9, v103
	ds_write_b32 v53, v12 offset:240
	ds_write2_b32 v112, v6, v8 offset1:30
	v_add_f32_e32 v6, v10, v50
	v_fmac_f32_e32 v10, -0.5, v7
	v_mul_u32_u24_e32 v7, 0x168, v123
	v_lshlrev_b32_e32 v8, 2, v124
	v_add3_u32 v115, 0, v7, v8
	v_sub_f32_e32 v7, v5, v3
	v_mov_b32_e32 v8, v10
	v_add_f32_e32 v6, v6, v97
	v_fmac_f32_e32 v8, 0x3f5db3d7, v7
	ds_write_b32 v112, v11 offset:240
	ds_write2_b32 v115, v6, v8 offset1:30
	v_add_f32_e32 v6, v101, v23
	v_add_f32_e32 v116, v6, v25
	;; [unrolled: 1-line block ×3, first 2 shown]
	v_fmac_f32_e32 v101, -0.5, v6
	v_sub_f32_e32 v117, v22, v24
	v_mov_b32_e32 v118, v101
	v_fmac_f32_e32 v10, 0xbf5db3d7, v7
	v_fmac_f32_e32 v118, 0xbf5db3d7, v117
	;; [unrolled: 1-line block ×3, first 2 shown]
	ds_write_b32 v115, v10 offset:240
	s_waitcnt lgkmcnt(0)
	s_barrier
	ds_read_b32 v30, v86
	ds_read_b32 v29, v85
	;; [unrolled: 1-line block ×10, first 2 shown]
	ds_read2_b32 v[54:55], v57 offset0:42 offset1:123
	ds_read2_b32 v[91:92], v59 offset0:84 offset1:165
	;; [unrolled: 1-line block ×10, first 2 shown]
	s_waitcnt lgkmcnt(0)
	s_barrier
	ds_write2_b32 v98, v116, v118 offset1:30
	ds_write_b32 v98, v101 offset:240
	v_add_f32_e32 v98, v99, v33
	v_add_f32_e32 v33, v33, v35
	v_fmac_f32_e32 v99, -0.5, v33
	v_sub_f32_e32 v32, v32, v34
	v_mov_b32_e32 v33, v99
	v_add_f32_e32 v98, v98, v35
	v_fmac_f32_e32 v33, 0xbf5db3d7, v32
	ds_write2_b32 v128, v98, v33 offset1:30
	v_add_f32_e32 v33, v37, v42
	v_fmac_f32_e32 v99, 0x3f5db3d7, v32
	v_add_f32_e32 v32, v100, v37
	v_fmac_f32_e32 v100, -0.5, v33
	v_sub_f32_e32 v33, v36, v41
	v_mov_b32_e32 v34, v100
	v_add_f32_e32 v32, v32, v42
	v_fmac_f32_e32 v34, 0xbf5db3d7, v33
	ds_write_b32 v128, v99 offset:240
	ds_write2_b32 v20, v32, v34 offset1:30
	v_fmac_f32_e32 v100, 0x3f5db3d7, v33
	v_add_f32_e32 v32, v122, v52
	ds_write_b32 v20, v100 offset:240
	v_add_f32_e32 v20, v104, v122
	v_fmac_f32_e32 v104, -0.5, v32
	v_sub_f32_e32 v32, v121, v125
	v_mov_b32_e32 v33, v104
	v_add_f32_e32 v20, v20, v52
	v_fmac_f32_e32 v33, 0xbf5db3d7, v32
	v_fmac_f32_e32 v104, 0x3f5db3d7, v32
	v_add_f32_e32 v32, v88, v90
	ds_write2_b32 v38, v20, v33 offset1:30
	v_add_f32_e32 v20, v105, v88
	v_fmac_f32_e32 v105, -0.5, v32
	v_sub_f32_e32 v32, v51, v87
	v_mov_b32_e32 v33, v105
	v_add_f32_e32 v20, v20, v90
	v_fmac_f32_e32 v33, 0xbf5db3d7, v32
	v_fmac_f32_e32 v105, 0x3f5db3d7, v32
	v_add_f32_e32 v32, v108, v94
	ds_write_b32 v38, v104 offset:240
	ds_write2_b32 v39, v20, v33 offset1:30
	v_add_f32_e32 v20, v110, v108
	v_fmac_f32_e32 v110, -0.5, v32
	v_sub_f32_e32 v32, v89, v109
	v_mov_b32_e32 v33, v110
	v_add_f32_e32 v20, v20, v94
	v_fmac_f32_e32 v33, 0xbf5db3d7, v32
	v_fmac_f32_e32 v110, 0x3f5db3d7, v32
	v_add_f32_e32 v32, v96, v95
	ds_write_b32 v39, v105 offset:240
	ds_write2_b32 v40, v20, v33 offset1:30
	v_add_f32_e32 v20, v111, v96
	v_fmac_f32_e32 v111, -0.5, v32
	v_sub_f32_e32 v32, v93, v47
	v_mov_b32_e32 v33, v111
	v_add_f32_e32 v34, v44, v46
	v_fmac_f32_e32 v33, 0xbf5db3d7, v32
	v_fmac_f32_e32 v111, 0x3f5db3d7, v32
	v_add_f32_e32 v32, v113, v44
	v_fmac_f32_e32 v113, -0.5, v34
	v_sub_f32_e32 v34, v49, v43
	v_mov_b32_e32 v35, v113
	v_fmac_f32_e32 v35, 0xbf5db3d7, v34
	v_fmac_f32_e32 v113, 0x3f5db3d7, v34
	v_add_f32_e32 v34, v126, v4
	v_add_f32_e32 v34, v34, v2
	;; [unrolled: 1-line block ×3, first 2 shown]
	v_fmac_f32_e32 v126, -0.5, v2
	v_sub_f32_e32 v2, v45, v48
	v_mov_b32_e32 v4, v126
	v_fmac_f32_e32 v4, 0xbf5db3d7, v2
	v_fmac_f32_e32 v126, 0x3f5db3d7, v2
	v_add_f32_e32 v2, v127, v5
	v_add_f32_e32 v2, v2, v3
	;; [unrolled: 1-line block ×3, first 2 shown]
	v_fmac_f32_e32 v127, -0.5, v3
	v_sub_f32_e32 v3, v50, v97
	v_mov_b32_e32 v5, v127
	v_add_f32_e32 v20, v20, v95
	v_fmac_f32_e32 v5, 0xbf5db3d7, v3
	ds_write_b32 v40, v110 offset:240
	v_add_f32_e32 v32, v32, v46
	v_fmac_f32_e32 v127, 0x3f5db3d7, v3
	ds_write2_b32 v114, v20, v33 offset1:30
	ds_write_b32 v114, v111 offset:240
	ds_write2_b32 v53, v32, v35 offset1:30
	ds_write_b32 v53, v113 offset:240
	;; [unrolled: 2-line block ×4, first 2 shown]
	v_lshlrev_b32_e32 v4, 1, v62
	v_mov_b32_e32 v5, 0
	v_lshlrev_b64 v[2:3], 3, v[4:5]
	v_mov_b32_e32 v20, s9
	v_add_co_u32_e64 v2, s[0:1], s8, v2
	v_addc_co_u32_e64 v3, s[0:1], v20, v3, s[0:1]
	v_add_u32_e32 v36, -9, v62
	v_cmp_gt_u32_e64 s[0:1], 9, v62
	v_cndmask_b32_e64 v39, v36, v67, s[0:1]
	s_waitcnt lgkmcnt(0)
	s_barrier
	global_load_dwordx4 v[32:35], v[2:3], off offset:640
	v_lshlrev_b32_e32 v36, 1, v39
	v_mov_b32_e32 v37, v5
	v_lshlrev_b64 v[36:37], 3, v[36:37]
	v_add_co_u32_e64 v36, s[0:1], s8, v36
	v_addc_co_u32_e64 v37, s[0:1], v20, v37, s[0:1]
	global_load_dwordx4 v[46:49], v[36:37], off offset:640
	s_movk_i32 s0, 0xb7
	v_mul_lo_u16_sdwa v36, v70, s0 dst_sel:DWORD dst_unused:UNUSED_PAD src0_sel:BYTE_0 src1_sel:DWORD
	v_lshrrev_b16_e32 v42, 14, v36
	v_mul_lo_u16_e32 v36, 0x5a, v42
	v_sub_u16_e32 v43, v70, v36
	v_lshlrev_b32_sdwa v18, v18, v43 dst_sel:DWORD dst_unused:UNUSED_PAD src0_sel:DWORD src1_sel:BYTE_0
	global_load_dwordx4 v[50:53], v18, s[8:9] offset:640
	s_movk_i32 s0, 0x2d83
	v_mul_u32_u24_sdwa v18, v63, s0 dst_sel:DWORD dst_unused:UNUSED_PAD src0_sel:WORD_0 src1_sel:DWORD
	v_lshrrev_b32_e32 v44, 20, v18
	v_mul_lo_u16_e32 v18, 0x5a, v44
	v_sub_u16_e32 v45, v63, v18
	v_lshlrev_b32_e32 v18, 4, v45
	global_load_dwordx4 v[87:90], v18, s[8:9] offset:640
	ds_read2_b32 v[40:41], v57 offset0:42 offset1:123
	ds_read2_b32 v[94:95], v59 offset0:84 offset1:165
	;; [unrolled: 1-line block ×3, first 2 shown]
	s_waitcnt vmcnt(3)
	v_mul_f32_e32 v36, v54, v33
	s_waitcnt lgkmcnt(2)
	v_mul_f32_e32 v18, v40, v33
	v_fmac_f32_e32 v36, v40, v32
	v_mul_u32_u24_sdwa v40, v65, s0 dst_sel:DWORD dst_unused:UNUSED_PAD src0_sel:WORD_0 src1_sel:DWORD
	v_lshrrev_b32_e32 v110, 20, v40
	v_mul_lo_u16_e32 v40, 0x5a, v110
	v_fma_f32 v18, v54, v32, -v18
	s_waitcnt lgkmcnt(1)
	v_mul_f32_e32 v32, v94, v35
	v_mul_f32_e32 v38, v91, v35
	v_sub_u16_e32 v111, v65, v40
	v_fma_f32 v37, v91, v34, -v32
	v_fmac_f32_e32 v38, v94, v34
	s_waitcnt vmcnt(2)
	v_mul_f32_e32 v32, v41, v47
	v_mul_f32_e32 v34, v95, v49
	v_lshlrev_b32_e32 v40, 4, v111
	v_fma_f32 v32, v55, v46, -v32
	v_mul_f32_e32 v33, v55, v47
	v_fma_f32 v34, v92, v48, -v34
	v_mul_f32_e32 v35, v92, v49
	global_load_dwordx4 v[91:94], v40, s[8:9] offset:640
	ds_read2_b32 v[54:55], v61 offset0:76 offset1:157
	v_mul_u32_u24_sdwa v40, v69, s0 dst_sel:DWORD dst_unused:UNUSED_PAD src0_sel:WORD_0 src1_sel:DWORD
	v_lshrrev_b32_e32 v112, 20, v40
	v_mul_lo_u16_e32 v40, 0x5a, v112
	v_sub_u16_e32 v113, v69, v40
	v_lshlrev_b32_e32 v40, 4, v113
	v_fmac_f32_e32 v33, v41, v46
	v_fmac_f32_e32 v35, v95, v48
	global_load_dwordx4 v[46:49], v40, s[8:9] offset:640
	s_waitcnt vmcnt(3) lgkmcnt(0)
	v_mul_f32_e32 v40, v54, v51
	v_mul_f32_e32 v41, v102, v51
	v_mul_u32_u24_sdwa v51, v64, s0 dst_sel:DWORD dst_unused:UNUSED_PAD src0_sel:WORD_0 src1_sel:DWORD
	v_lshrrev_b32_e32 v114, 20, v51
	v_mul_lo_u16_e32 v51, 0x5a, v114
	v_sub_u16_e32 v115, v64, v51
	v_lshlrev_b32_e32 v51, 4, v115
	global_load_dwordx4 v[95:98], v51, s[8:9] offset:640
	v_mul_u32_u24_sdwa v51, v68, s0 dst_sel:DWORD dst_unused:UNUSED_PAD src0_sel:WORD_0 src1_sel:DWORD
	v_lshrrev_b32_e32 v116, 20, v51
	v_mul_lo_u16_e32 v51, 0x5a, v116
	v_sub_u16_e32 v117, v68, v51
	v_lshlrev_b32_e32 v51, 4, v117
	v_fma_f32 v40, v102, v50, -v40
	v_fmac_f32_e32 v41, v54, v50
	v_mul_f32_e32 v50, v108, v53
	global_load_dwordx4 v[99:102], v51, s[8:9] offset:640
	v_fma_f32 v118, v106, v52, -v50
	v_mul_f32_e32 v119, v106, v53
	v_mul_u32_u24_sdwa v50, v71, s0 dst_sel:DWORD dst_unused:UNUSED_PAD src0_sel:WORD_0 src1_sel:DWORD
	v_fmac_f32_e32 v119, v108, v52
	v_lshrrev_b32_e32 v108, 20, v50
	v_mul_lo_u16_e32 v50, 0x5a, v108
	s_waitcnt vmcnt(4)
	v_mul_f32_e32 v54, v55, v88
	v_sub_u16_e32 v120, v71, v50
	v_lshlrev_b32_e32 v50, 4, v120
	v_fma_f32 v121, v103, v87, -v54
	v_mul_u32_u24_sdwa v54, v66, s0 dst_sel:DWORD dst_unused:UNUSED_PAD src0_sel:WORD_0 src1_sel:DWORD
	global_load_dwordx4 v[50:53], v50, s[8:9] offset:640
	v_lshrrev_b32_e32 v54, 20, v54
	v_mul_lo_u16_e32 v54, 0x5a, v54
	v_sub_u16_e32 v123, v66, v54
	v_lshlrev_b32_e32 v54, 4, v123
	v_mul_f32_e32 v122, v103, v88
	global_load_dwordx4 v[103:106], v54, s[8:9] offset:640
	v_mul_f32_e32 v54, v109, v90
	v_fmac_f32_e32 v122, v55, v87
	v_fma_f32 v124, v107, v89, -v54
	ds_read2_b32 v[54:55], v75 offset0:110 offset1:191
	ds_read2_b32 v[87:88], v76 offset0:152 offset1:233
	v_mul_f32_e32 v90, v107, v90
	v_fmac_f32_e32 v90, v109, v89
	v_cmp_lt_u32_e64 s[0:1], 8, v62
	s_waitcnt vmcnt(5) lgkmcnt(1)
	v_mul_f32_e32 v89, v54, v92
	v_fma_f32 v89, v16, v91, -v89
	v_mul_f32_e32 v92, v16, v92
	s_waitcnt lgkmcnt(0)
	v_mul_f32_e32 v16, v87, v94
	v_fmac_f32_e32 v92, v54, v91
	v_fma_f32 v91, v14, v93, -v16
	v_mul_f32_e32 v94, v14, v94
	v_fmac_f32_e32 v94, v87, v93
	s_waitcnt vmcnt(4)
	v_mul_f32_e32 v14, v55, v47
	v_fma_f32 v87, v17, v46, -v14
	v_mul_f32_e32 v47, v17, v47
	v_mul_f32_e32 v14, v88, v49
	ds_read2_b32 v[16:17], v78 offset0:16 offset1:97
	v_fmac_f32_e32 v47, v55, v46
	v_fma_f32 v46, v15, v48, -v14
	v_mul_f32_e32 v49, v15, v49
	ds_read2_b32 v[14:15], v79 offset0:58 offset1:139
	v_fmac_f32_e32 v49, v88, v48
	s_waitcnt vmcnt(3) lgkmcnt(1)
	v_mul_f32_e32 v48, v16, v96
	v_fma_f32 v48, v12, v95, -v48
	v_mul_f32_e32 v55, v12, v96
	s_waitcnt lgkmcnt(0)
	v_mul_f32_e32 v12, v14, v98
	v_fma_f32 v88, v10, v97, -v12
	v_mul_f32_e32 v93, v10, v98
	v_fmac_f32_e32 v55, v16, v95
	s_waitcnt vmcnt(2)
	v_mul_f32_e32 v10, v17, v100
	v_fma_f32 v95, v13, v99, -v10
	v_mul_f32_e32 v96, v13, v100
	ds_read2_b32 v[12:13], v82 offset0:50 offset1:131
	v_mul_f32_e32 v10, v15, v102
	v_fmac_f32_e32 v93, v14, v97
	v_fma_f32 v97, v11, v101, -v10
	v_mul_f32_e32 v98, v11, v102
	ds_read2_b32 v[10:11], v83 offset0:92 offset1:173
	v_fmac_f32_e32 v96, v17, v99
	v_fmac_f32_e32 v98, v15, v101
	ds_read_b32 v100, v86
	ds_read_b32 v101, v85
	;; [unrolled: 1-line block ×10, first 2 shown]
	s_waitcnt vmcnt(1) lgkmcnt(11)
	v_mul_f32_e32 v14, v12, v51
	v_fma_f32 v99, v8, v50, -v14
	v_mul_f32_e32 v8, v8, v51
	v_fmac_f32_e32 v8, v12, v50
	s_waitcnt lgkmcnt(10)
	v_mul_f32_e32 v12, v10, v53
	v_fma_f32 v50, v6, v52, -v12
	v_mul_f32_e32 v6, v6, v53
	v_fmac_f32_e32 v6, v10, v52
	s_waitcnt vmcnt(0)
	v_mul_f32_e32 v10, v13, v104
	v_fma_f32 v51, v9, v103, -v10
	v_mul_f32_e32 v10, v11, v106
	v_fma_f32 v52, v7, v105, -v10
	v_mul_f32_e32 v7, v7, v106
	v_fmac_f32_e32 v7, v11, v105
	v_add_f32_e32 v11, v18, v37
	v_add_f32_e32 v10, v31, v18
	v_fmac_f32_e32 v31, -0.5, v11
	v_sub_f32_e32 v11, v36, v38
	v_mov_b32_e32 v12, v31
	v_add_f32_e32 v10, v10, v37
	v_fmac_f32_e32 v12, 0x3f5db3d7, v11
	v_fmac_f32_e32 v31, 0xbf5db3d7, v11
	v_add_f32_e32 v11, v32, v34
	s_waitcnt lgkmcnt(0)
	s_barrier
	ds_write2_b32 v60, v10, v12 offset1:90
	v_add_f32_e32 v10, v30, v32
	v_fmac_f32_e32 v30, -0.5, v11
	v_mov_b32_e32 v11, 0x438
	v_cndmask_b32_e64 v11, 0, v11, s[0:1]
	v_lshlrev_b32_e32 v12, 2, v39
	ds_write_b32 v60, v31 offset:720
	v_add3_u32 v31, 0, v11, v12
	v_sub_f32_e32 v11, v33, v35
	v_mov_b32_e32 v12, v30
	v_add_f32_e32 v10, v10, v34
	v_fmac_f32_e32 v12, 0x3f5db3d7, v11
	v_fmac_f32_e32 v30, 0xbf5db3d7, v11
	v_add_f32_e32 v11, v40, v118
	ds_write2_b32 v31, v10, v12 offset1:90
	v_add_f32_e32 v10, v29, v40
	v_fmac_f32_e32 v29, -0.5, v11
	v_lshlrev_b32_sdwa v11, v19, v43 dst_sel:DWORD dst_unused:UNUSED_PAD src0_sel:DWORD src1_sel:BYTE_0
	v_mul_u32_u24_e32 v12, 0x438, v42
	ds_write_b32 v31, v30 offset:720
	v_add3_u32 v30, 0, v12, v11
	v_sub_f32_e32 v11, v41, v119
	v_mov_b32_e32 v12, v29
	v_add_f32_e32 v10, v10, v118
	v_fmac_f32_e32 v12, 0x3f5db3d7, v11
	v_fmac_f32_e32 v29, 0xbf5db3d7, v11
	v_add_f32_e32 v11, v121, v124
	ds_write2_b32 v30, v10, v12 offset1:90
	v_add_f32_e32 v10, v27, v121
	v_fmac_f32_e32 v27, -0.5, v11
	v_mul_u32_u24_e32 v11, 0x438, v44
	v_lshlrev_b32_e32 v12, 2, v45
	ds_write_b32 v30, v29 offset:720
	v_add3_u32 v29, 0, v11, v12
	v_sub_f32_e32 v11, v122, v90
	v_mov_b32_e32 v12, v27
	v_add_f32_e32 v10, v10, v124
	v_fmac_f32_e32 v12, 0x3f5db3d7, v11
	v_fmac_f32_e32 v27, 0xbf5db3d7, v11
	v_add_f32_e32 v11, v89, v91
	ds_write2_b32 v29, v10, v12 offset1:90
	v_add_f32_e32 v10, v26, v89
	v_fmac_f32_e32 v26, -0.5, v11
	v_mul_u32_u24_e32 v11, 0x438, v110
	v_lshlrev_b32_e32 v12, 2, v111
	v_add3_u32 v39, 0, v11, v12
	v_sub_f32_e32 v11, v92, v94
	v_mov_b32_e32 v12, v26
	v_add_f32_e32 v10, v10, v91
	v_fmac_f32_e32 v12, 0x3f5db3d7, v11
	v_fmac_f32_e32 v26, 0xbf5db3d7, v11
	v_add_f32_e32 v11, v87, v46
	ds_write_b32 v29, v27 offset:720
	ds_write2_b32 v39, v10, v12 offset1:90
	v_add_f32_e32 v10, v25, v87
	v_fmac_f32_e32 v25, -0.5, v11
	v_mul_u32_u24_e32 v11, 0x438, v112
	v_lshlrev_b32_e32 v12, 2, v113
	v_add3_u32 v42, 0, v11, v12
	v_sub_f32_e32 v11, v47, v49
	v_mov_b32_e32 v12, v25
	v_add_f32_e32 v10, v10, v46
	v_fmac_f32_e32 v12, 0x3f5db3d7, v11
	v_fmac_f32_e32 v25, 0xbf5db3d7, v11
	v_add_f32_e32 v11, v48, v88
	ds_write_b32 v39, v26 offset:720
	ds_write2_b32 v42, v10, v12 offset1:90
	v_add_f32_e32 v10, v24, v48
	v_fmac_f32_e32 v24, -0.5, v11
	v_mul_u32_u24_e32 v11, 0x438, v114
	v_lshlrev_b32_e32 v12, 2, v115
	ds_write_b32 v42, v25 offset:720
	v_add3_u32 v25, 0, v11, v12
	v_sub_f32_e32 v11, v55, v93
	v_mov_b32_e32 v12, v24
	v_add_f32_e32 v10, v10, v88
	v_fmac_f32_e32 v12, 0x3f5db3d7, v11
	v_fmac_f32_e32 v24, 0xbf5db3d7, v11
	v_add_f32_e32 v11, v95, v97
	ds_write2_b32 v25, v10, v12 offset1:90
	v_add_f32_e32 v10, v23, v95
	v_fmac_f32_e32 v23, -0.5, v11
	v_mul_u32_u24_e32 v11, 0x438, v116
	v_lshlrev_b32_e32 v12, 2, v117
	v_add3_u32 v43, 0, v11, v12
	v_sub_f32_e32 v11, v96, v98
	v_mov_b32_e32 v12, v23
	v_add_f32_e32 v10, v10, v97
	v_fmac_f32_e32 v12, 0x3f5db3d7, v11
	v_fmac_f32_e32 v23, 0xbf5db3d7, v11
	v_add_f32_e32 v11, v99, v50
	ds_write_b32 v25, v24 offset:720
	ds_write2_b32 v43, v10, v12 offset1:90
	v_add_f32_e32 v10, v22, v99
	v_fmac_f32_e32 v22, -0.5, v11
	v_mul_u32_u24_e32 v11, 0x438, v108
	v_lshlrev_b32_e32 v12, 2, v120
	v_add3_u32 v44, 0, v11, v12
	v_sub_f32_e32 v11, v8, v6
	v_mov_b32_e32 v12, v22
	v_mul_f32_e32 v9, v9, v104
	v_add_f32_e32 v10, v10, v50
	v_fmac_f32_e32 v12, 0x3f5db3d7, v11
	v_fmac_f32_e32 v22, 0xbf5db3d7, v11
	v_add_f32_e32 v11, v51, v52
	v_fmac_f32_e32 v9, v13, v103
	ds_write_b32 v43, v23 offset:720
	ds_write2_b32 v44, v10, v12 offset1:90
	v_add_f32_e32 v10, v21, v51
	v_fmac_f32_e32 v21, -0.5, v11
	v_sub_f32_e32 v11, v9, v7
	v_mov_b32_e32 v12, v21
	v_lshl_add_u32 v45, v123, 2, 0
	v_add_f32_e32 v10, v10, v52
	v_fmac_f32_e32 v12, 0x3f5db3d7, v11
	v_add_u32_e32 v115, 0x2000, v45
	ds_write_b32 v44, v22 offset:720
	ds_write2_b32 v115, v10, v12 offset0:112 offset1:202
	v_add_f32_e32 v10, v102, v36
	v_add_f32_e32 v116, v10, v38
	;; [unrolled: 1-line block ×3, first 2 shown]
	v_fmac_f32_e32 v102, -0.5, v10
	v_sub_f32_e32 v36, v18, v37
	v_mov_b32_e32 v37, v102
	v_fmac_f32_e32 v37, 0xbf5db3d7, v36
	v_fmac_f32_e32 v102, 0x3f5db3d7, v36
	v_add_f32_e32 v36, v100, v33
	v_add_f32_e32 v33, v33, v35
	v_fmac_f32_e32 v100, -0.5, v33
	v_sub_f32_e32 v32, v32, v34
	v_mov_b32_e32 v33, v100
	v_fmac_f32_e32 v21, 0xbf5db3d7, v11
	v_add_f32_e32 v36, v36, v35
	v_fmac_f32_e32 v33, 0xbf5db3d7, v32
	v_fmac_f32_e32 v100, 0x3f5db3d7, v32
	v_add_f32_e32 v32, v41, v119
	ds_write_b32 v45, v21 offset:9360
	s_waitcnt lgkmcnt(0)
	s_barrier
	ds_read_b32 v23, v86
	ds_read_b32 v22, v85
	;; [unrolled: 1-line block ×10, first 2 shown]
	ds_read2_b32 v[26:27], v57 offset0:42 offset1:123
	ds_read2_b32 v[53:54], v59 offset0:84 offset1:165
	;; [unrolled: 1-line block ×10, first 2 shown]
	s_waitcnt lgkmcnt(0)
	s_barrier
	ds_write2_b32 v60, v116, v37 offset1:90
	ds_write_b32 v60, v102 offset:720
	ds_write2_b32 v31, v36, v33 offset1:90
	ds_write_b32 v31, v100 offset:720
	v_add_f32_e32 v31, v101, v41
	v_fmac_f32_e32 v101, -0.5, v32
	v_sub_f32_e32 v32, v40, v118
	v_mov_b32_e32 v33, v101
	v_add_f32_e32 v31, v31, v119
	v_fmac_f32_e32 v33, 0xbf5db3d7, v32
	ds_write2_b32 v30, v31, v33 offset1:90
	v_fmac_f32_e32 v101, 0x3f5db3d7, v32
	v_add_f32_e32 v31, v122, v90
	ds_write_b32 v30, v101 offset:720
	v_add_f32_e32 v30, v125, v122
	v_fmac_f32_e32 v125, -0.5, v31
	v_sub_f32_e32 v31, v121, v124
	v_mov_b32_e32 v32, v125
	v_add_f32_e32 v30, v30, v90
	v_fmac_f32_e32 v32, 0xbf5db3d7, v31
	ds_write2_b32 v29, v30, v32 offset1:90
	v_fmac_f32_e32 v125, 0x3f5db3d7, v31
	v_add_f32_e32 v30, v92, v94
	ds_write_b32 v29, v125 offset:720
	v_add_f32_e32 v29, v126, v92
	v_fmac_f32_e32 v126, -0.5, v30
	v_sub_f32_e32 v30, v89, v91
	v_mov_b32_e32 v31, v126
	v_add_f32_e32 v29, v29, v94
	v_fmac_f32_e32 v31, 0xbf5db3d7, v30
	v_fmac_f32_e32 v126, 0x3f5db3d7, v30
	v_add_f32_e32 v30, v47, v49
	ds_write2_b32 v39, v29, v31 offset1:90
	v_add_f32_e32 v29, v127, v47
	v_fmac_f32_e32 v127, -0.5, v30
	v_sub_f32_e32 v30, v87, v46
	v_mov_b32_e32 v31, v127
	v_add_f32_e32 v29, v29, v49
	v_fmac_f32_e32 v31, 0xbf5db3d7, v30
	v_fmac_f32_e32 v127, 0x3f5db3d7, v30
	v_add_f32_e32 v30, v55, v93
	ds_write_b32 v39, v126 offset:720
	ds_write2_b32 v42, v29, v31 offset1:90
	v_add_f32_e32 v29, v128, v55
	v_fmac_f32_e32 v128, -0.5, v30
	v_sub_f32_e32 v30, v48, v88
	v_mov_b32_e32 v31, v128
	v_add_f32_e32 v29, v29, v93
	v_fmac_f32_e32 v31, 0xbf5db3d7, v30
	ds_write_b32 v42, v127 offset:720
	ds_write2_b32 v25, v29, v31 offset1:90
	v_fmac_f32_e32 v128, 0x3f5db3d7, v30
	v_add_f32_e32 v29, v96, v98
	ds_write_b32 v25, v128 offset:720
	v_add_f32_e32 v25, v129, v96
	v_fmac_f32_e32 v129, -0.5, v29
	v_sub_f32_e32 v29, v95, v97
	v_mov_b32_e32 v30, v129
	v_fmac_f32_e32 v30, 0xbf5db3d7, v29
	v_fmac_f32_e32 v129, 0x3f5db3d7, v29
	v_add_f32_e32 v29, v130, v8
	v_add_f32_e32 v29, v29, v6
	;; [unrolled: 1-line block ×3, first 2 shown]
	v_fmac_f32_e32 v130, -0.5, v6
	v_sub_f32_e32 v6, v99, v50
	v_mov_b32_e32 v8, v130
	v_fmac_f32_e32 v8, 0xbf5db3d7, v6
	v_fmac_f32_e32 v130, 0x3f5db3d7, v6
	v_add_f32_e32 v6, v131, v9
	v_add_f32_e32 v6, v6, v7
	;; [unrolled: 1-line block ×3, first 2 shown]
	v_fmac_f32_e32 v131, -0.5, v7
	v_add_f32_e32 v25, v25, v98
	v_sub_f32_e32 v7, v51, v52
	v_mov_b32_e32 v9, v131
	v_fmac_f32_e32 v9, 0xbf5db3d7, v7
	v_fmac_f32_e32 v131, 0x3f5db3d7, v7
	ds_write2_b32 v43, v25, v30 offset1:90
	ds_write_b32 v43, v129 offset:720
	ds_write2_b32 v44, v29, v8 offset1:90
	ds_write_b32 v44, v130 offset:720
	ds_write2_b32 v115, v6, v9 offset0:112 offset1:202
	ds_write_b32 v45, v131 offset:9360
	v_lshlrev_b32_e32 v6, 1, v67
	v_mov_b32_e32 v7, v5
	v_lshlrev_b64 v[6:7], 3, v[6:7]
	v_lshlrev_b32_e32 v8, 1, v70
	v_mov_b32_e32 v9, v5
	v_add_co_u32_e64 v6, s[0:1], s8, v6
	v_lshlrev_b64 v[8:9], 3, v[8:9]
	v_addc_co_u32_e64 v7, s[0:1], v20, v7, s[0:1]
	s_waitcnt lgkmcnt(0)
	s_barrier
	global_load_dwordx4 v[29:32], v[2:3], off offset:2080
	global_load_dwordx4 v[33:36], v[6:7], off offset:2080
	v_add_co_u32_e64 v8, s[0:1], s8, v8
	v_addc_co_u32_e64 v9, s[0:1], v20, v9, s[0:1]
	v_subrev_u32_e32 v25, 27, v62
	v_cmp_gt_u32_e64 s[0:1], 27, v62
	v_cndmask_b32_e64 v25, v25, v63, s[0:1]
	v_lshlrev_b32_e32 v41, 1, v25
	v_mov_b32_e32 v42, v5
	v_lshlrev_b64 v[41:42], 3, v[41:42]
	global_load_dwordx4 v[37:40], v[8:9], off offset:2080
	v_add_co_u32_e64 v41, s[0:1], s8, v41
	v_addc_co_u32_e64 v42, s[0:1], v20, v42, s[0:1]
	global_load_dwordx4 v[41:44], v[41:42], off offset:2080
	v_add_u32_e32 v45, 0x6c, v4
	v_mov_b32_e32 v46, v5
	v_lshlrev_b64 v[45:46], 3, v[45:46]
	v_add_u32_e32 v4, 0x10e, v4
	v_add_co_u32_e64 v45, s[0:1], s8, v45
	v_lshlrev_b64 v[49:50], 3, v[4:5]
	v_addc_co_u32_e64 v46, s[0:1], v20, v46, s[0:1]
	v_add_co_u32_e64 v49, s[0:1], s8, v49
	global_load_dwordx4 v[45:48], v[45:46], off offset:2080
	v_addc_co_u32_e64 v50, s[0:1], v20, v50, s[0:1]
	global_load_dwordx4 v[49:52], v[49:50], off offset:2080
	s_movk_i32 s0, 0x795d
	v_mul_u32_u24_sdwa v4, v64, s0 dst_sel:DWORD dst_unused:UNUSED_PAD src0_sel:WORD_0 src1_sel:DWORD
	v_mul_u32_u24_sdwa v95, v71, s0 dst_sel:DWORD dst_unused:UNUSED_PAD src0_sel:WORD_0 src1_sel:DWORD
	v_lshrrev_b32_e32 v4, 23, v4
	v_lshrrev_b32_e32 v95, 23, v95
	v_mul_lo_u16_e32 v20, 0x10e, v4
	v_mul_lo_u16_e32 v95, 0x10e, v95
	v_sub_u16_e32 v20, v64, v20
	v_sub_u16_e32 v119, v71, v95
	v_lshlrev_b32_e32 v55, 4, v20
	v_lshlrev_b32_e32 v95, 4, v119
	global_load_dwordx4 v[87:90], v55, s[8:9] offset:2080
	v_mul_u32_u24_sdwa v99, v66, s0 dst_sel:DWORD dst_unused:UNUSED_PAD src0_sel:WORD_0 src1_sel:DWORD
	global_load_dwordx4 v[95:98], v95, s[8:9] offset:2080
	v_mul_u32_u24_sdwa v55, v68, s0 dst_sel:DWORD dst_unused:UNUSED_PAD src0_sel:WORD_0 src1_sel:DWORD
	v_lshrrev_b32_e32 v55, 23, v55
	v_mul_lo_u16_e32 v55, 0x10e, v55
	v_sub_u16_e32 v55, v68, v55
	v_lshlrev_b32_e32 v91, 4, v55
	global_load_dwordx4 v[91:94], v91, s[8:9] offset:2080
	v_lshrrev_b32_e32 v99, 23, v99
	v_mul_lo_u16_e32 v99, 0x10e, v99
	v_sub_u16_e32 v121, v66, v99
	v_lshlrev_b32_e32 v99, 4, v121
	global_load_dwordx4 v[99:102], v99, s[8:9] offset:2080
	ds_read2_b32 v[115:116], v57 offset0:42 offset1:123
	ds_read2_b32 v[117:118], v59 offset0:84 offset1:165
	v_cmp_lt_u32_e64 s[0:1], 26, v62
	v_mul_u32_u24_e32 v4, 0xca8, v4
	v_lshlrev_b32_e32 v20, 2, v20
	v_add3_u32 v4, 0, v4, v20
	s_waitcnt vmcnt(9) lgkmcnt(1)
	v_mul_f32_e32 v120, v115, v30
	v_fma_f32 v120, v26, v29, -v120
	v_mul_f32_e32 v122, v26, v30
	s_waitcnt lgkmcnt(0)
	v_mul_f32_e32 v26, v117, v32
	v_fmac_f32_e32 v122, v115, v29
	v_fma_f32 v115, v53, v31, -v26
	v_mul_f32_e32 v32, v53, v32
	s_waitcnt vmcnt(8)
	v_mul_f32_e32 v26, v116, v34
	v_mul_f32_e32 v34, v27, v34
	;; [unrolled: 1-line block ×3, first 2 shown]
	v_fmac_f32_e32 v32, v117, v31
	v_fma_f32 v31, v27, v33, -v26
	v_fmac_f32_e32 v34, v116, v33
	ds_read2_b32 v[26:27], v61 offset0:76 offset1:157
	v_fma_f32 v33, v54, v35, -v29
	ds_read2_b32 v[29:30], v72 offset0:118 offset1:199
	v_mul_f32_e32 v36, v54, v36
	s_waitcnt vmcnt(7)
	v_mul_f32_e32 v54, v103, v38
	v_fmac_f32_e32 v36, v118, v35
	s_waitcnt lgkmcnt(1)
	v_mul_f32_e32 v35, v26, v38
	v_fmac_f32_e32 v54, v26, v37
	s_waitcnt lgkmcnt(0)
	v_mul_f32_e32 v26, v29, v40
	v_fma_f32 v53, v103, v37, -v35
	v_fma_f32 v103, v105, v39, -v26
	s_waitcnt vmcnt(6)
	v_mul_f32_e32 v26, v27, v42
	v_mul_f32_e32 v105, v105, v40
	v_fma_f32 v116, v104, v41, -v26
	v_mul_f32_e32 v104, v104, v42
	v_fmac_f32_e32 v105, v29, v39
	v_fmac_f32_e32 v104, v27, v41
	v_mul_f32_e32 v29, v30, v44
	ds_read2_b32 v[26:27], v75 offset0:110 offset1:191
	v_fma_f32 v117, v106, v43, -v29
	v_mul_f32_e32 v106, v106, v44
	v_fmac_f32_e32 v106, v30, v43
	ds_read2_b32 v[29:30], v76 offset0:152 offset1:233
	s_waitcnt vmcnt(5) lgkmcnt(1)
	v_mul_f32_e32 v35, v26, v46
	v_fma_f32 v118, v107, v45, -v35
	v_mul_f32_e32 v107, v107, v46
	v_fmac_f32_e32 v107, v26, v45
	s_waitcnt lgkmcnt(0)
	v_mul_f32_e32 v26, v29, v48
	v_fma_f32 v123, v109, v47, -v26
	s_waitcnt vmcnt(4)
	v_mul_f32_e32 v26, v27, v50
	v_mul_f32_e32 v109, v109, v48
	v_fma_f32 v124, v108, v49, -v26
	v_mul_f32_e32 v108, v108, v50
	v_fmac_f32_e32 v109, v29, v47
	v_fmac_f32_e32 v108, v27, v49
	v_mul_f32_e32 v29, v30, v52
	ds_read2_b32 v[26:27], v78 offset0:16 offset1:97
	v_mul_f32_e32 v52, v110, v52
	v_fma_f32 v125, v110, v51, -v29
	v_fmac_f32_e32 v52, v30, v51
	ds_read2_b32 v[29:30], v79 offset0:58 offset1:139
	s_waitcnt vmcnt(3) lgkmcnt(1)
	v_mul_f32_e32 v35, v26, v88
	v_mul_f32_e32 v88, v111, v88
	v_fmac_f32_e32 v88, v26, v87
	v_fma_f32 v110, v111, v87, -v35
	s_waitcnt lgkmcnt(0)
	v_mul_f32_e32 v26, v29, v90
	v_fma_f32 v87, v113, v89, -v26
	v_mul_f32_e32 v90, v113, v90
	s_waitcnt vmcnt(1)
	v_mul_f32_e32 v26, v27, v92
	v_mul_f32_e32 v92, v112, v92
	v_fmac_f32_e32 v90, v29, v89
	v_fma_f32 v89, v112, v91, -v26
	v_fmac_f32_e32 v92, v27, v91
	v_mul_f32_e32 v29, v30, v94
	ds_read2_b32 v[26:27], v82 offset0:50 offset1:131
	v_mul_f32_e32 v94, v114, v94
	v_fma_f32 v91, v114, v93, -v29
	v_fmac_f32_e32 v94, v30, v93
	ds_read2_b32 v[29:30], v83 offset0:92 offset1:173
	s_waitcnt lgkmcnt(1)
	v_mul_f32_e32 v35, v26, v96
	v_fma_f32 v93, v12, v95, -v35
	v_mul_f32_e32 v96, v12, v96
	v_fmac_f32_e32 v96, v26, v95
	s_waitcnt lgkmcnt(0)
	v_mul_f32_e32 v12, v29, v98
	v_fma_f32 v95, v10, v97, -v12
	v_mul_f32_e32 v98, v10, v98
	s_waitcnt vmcnt(0)
	v_mul_f32_e32 v10, v27, v100
	v_fmac_f32_e32 v98, v29, v97
	v_fma_f32 v29, v13, v99, -v10
	v_mul_f32_e32 v97, v13, v100
	v_mul_f32_e32 v10, v30, v102
	v_fmac_f32_e32 v97, v27, v99
	v_fma_f32 v99, v11, v101, -v10
	v_mul_f32_e32 v100, v11, v102
	v_add_f32_e32 v11, v120, v115
	v_add_f32_e32 v10, v24, v120
	v_fmac_f32_e32 v24, -0.5, v11
	v_sub_f32_e32 v11, v122, v32
	v_mov_b32_e32 v12, v24
	v_add_f32_e32 v13, v31, v33
	v_fmac_f32_e32 v12, 0x3f5db3d7, v11
	v_fmac_f32_e32 v24, 0xbf5db3d7, v11
	v_add_f32_e32 v11, v23, v31
	v_fmac_f32_e32 v23, -0.5, v13
	v_sub_f32_e32 v13, v34, v36
	v_mov_b32_e32 v26, v23
	v_add_f32_e32 v27, v53, v103
	v_add_f32_e32 v10, v10, v115
	v_fmac_f32_e32 v100, v30, v101
	v_fmac_f32_e32 v26, 0x3f5db3d7, v13
	;; [unrolled: 1-line block ×3, first 2 shown]
	v_add_f32_e32 v13, v22, v53
	v_fmac_f32_e32 v22, -0.5, v27
	ds_read_b32 v101, v86
	ds_read_b32 v102, v85
	;; [unrolled: 1-line block ×10, first 2 shown]
	s_waitcnt lgkmcnt(0)
	s_barrier
	ds_write_b32 v60, v10
	ds_write_b32 v60, v12 offset:1080
	ds_write_b32 v60, v24 offset:2160
	v_add_f32_e32 v10, v11, v33
	v_sub_f32_e32 v27, v54, v105
	v_mov_b32_e32 v30, v22
	ds_write_b32 v86, v10
	ds_write_b32 v86, v26 offset:1080
	ds_write_b32 v86, v23 offset:2160
	v_add_f32_e32 v10, v13, v103
	v_fmac_f32_e32 v30, 0x3f5db3d7, v27
	v_fmac_f32_e32 v22, 0xbf5db3d7, v27
	v_add_f32_e32 v35, v116, v117
	ds_write_b32 v85, v10
	ds_write_b32 v85, v30 offset:1080
	ds_write_b32 v85, v22 offset:2160
	v_mov_b32_e32 v10, 0xca8
	v_add_f32_e32 v27, v21, v116
	v_fmac_f32_e32 v21, -0.5, v35
	v_cndmask_b32_e64 v10, 0, v10, s[0:1]
	v_lshlrev_b32_e32 v11, 2, v25
	v_sub_f32_e32 v35, v104, v106
	v_mov_b32_e32 v37, v21
	v_add3_u32 v22, 0, v10, v11
	v_add_f32_e32 v10, v27, v117
	v_fmac_f32_e32 v37, 0x3f5db3d7, v35
	v_fmac_f32_e32 v21, 0xbf5db3d7, v35
	ds_write_b32 v22, v10
	ds_write_b32 v22, v37 offset:1080
	ds_write_b32 v22, v21 offset:2160
	v_add_f32_e32 v10, v18, v118
	v_add_f32_e32 v11, v19, v124
	v_lshl_add_u32 v12, v62, 2, 0
	v_add_f32_e32 v10, v10, v123
	v_add_f32_e32 v11, v11, v125
	v_add_u32_e32 v21, 0xc00, v12
	ds_write2_b32 v21, v10, v11 offset0:96 offset1:177
	v_add_f32_e32 v10, v118, v123
	v_fmac_f32_e32 v18, -0.5, v10
	v_add_f32_e32 v10, v124, v125
	v_fmac_f32_e32 v19, -0.5, v10
	v_sub_f32_e32 v10, v107, v109
	v_mov_b32_e32 v11, v18
	v_sub_f32_e32 v13, v108, v52
	v_mov_b32_e32 v23, v19
	v_fmac_f32_e32 v11, 0x3f5db3d7, v10
	v_fmac_f32_e32 v23, 0x3f5db3d7, v13
	v_add_u32_e32 v24, 0x1000, v12
	ds_write2_b32 v24, v11, v23 offset0:110 offset1:191
	v_fmac_f32_e32 v18, 0xbf5db3d7, v10
	v_fmac_f32_e32 v19, 0xbf5db3d7, v13
	v_add_u32_e32 v23, 0x1400, v12
	v_add_f32_e32 v10, v111, v122
	ds_write2_b32 v23, v18, v19 offset0:124 offset1:205
	v_add_f32_e32 v18, v10, v32
	v_add_f32_e32 v10, v122, v32
	v_fmac_f32_e32 v111, -0.5, v10
	v_sub_f32_e32 v10, v120, v115
	v_mov_b32_e32 v19, v111
	v_fmac_f32_e32 v19, 0xbf5db3d7, v10
	v_fmac_f32_e32 v111, 0x3f5db3d7, v10
	v_add_f32_e32 v10, v101, v34
	v_add_f32_e32 v25, v10, v36
	;; [unrolled: 1-line block ×3, first 2 shown]
	v_fmac_f32_e32 v101, -0.5, v10
	v_sub_f32_e32 v10, v31, v33
	v_mov_b32_e32 v115, v101
	v_add_f32_e32 v11, v110, v87
	v_fmac_f32_e32 v115, 0xbf5db3d7, v10
	v_fmac_f32_e32 v101, 0x3f5db3d7, v10
	v_add_f32_e32 v10, v17, v110
	v_fmac_f32_e32 v17, -0.5, v11
	v_sub_f32_e32 v11, v88, v90
	v_mov_b32_e32 v12, v17
	v_add_f32_e32 v13, v89, v91
	v_fmac_f32_e32 v12, 0x3f5db3d7, v11
	v_fmac_f32_e32 v17, 0xbf5db3d7, v11
	v_add_f32_e32 v11, v16, v89
	;; [unrolled: 7-line block ×3, first 2 shown]
	v_fmac_f32_e32 v15, -0.5, v27
	v_sub_f32_e32 v27, v96, v98
	v_mov_b32_e32 v30, v15
	v_add_f32_e32 v31, v29, v99
	v_add_f32_e32 v10, v10, v87
	v_fmac_f32_e32 v30, 0x3f5db3d7, v27
	v_fmac_f32_e32 v15, 0xbf5db3d7, v27
	v_add_f32_e32 v27, v14, v29
	v_fmac_f32_e32 v14, -0.5, v31
	ds_write_b32 v4, v10
	ds_write_b32 v4, v12 offset:1080
	ds_write_b32 v4, v17 offset:2160
	v_add_f32_e32 v10, v11, v91
	v_lshl_add_u32 v17, v55, 2, 0
	v_sub_f32_e32 v31, v97, v100
	v_mov_b32_e32 v32, v14
	ds_write_b32 v17, v10 offset:6480
	ds_write_b32 v17, v26 offset:7560
	;; [unrolled: 1-line block ×3, first 2 shown]
	v_add_f32_e32 v10, v13, v95
	v_lshl_add_u32 v16, v119, 2, 0
	v_fmac_f32_e32 v32, 0x3f5db3d7, v31
	v_fmac_f32_e32 v14, 0xbf5db3d7, v31
	ds_write_b32 v16, v10 offset:6480
	ds_write_b32 v16, v30 offset:7560
	;; [unrolled: 1-line block ×3, first 2 shown]
	v_add_f32_e32 v10, v27, v99
	v_lshl_add_u32 v15, v121, 2, 0
	ds_write_b32 v15, v10 offset:6480
	ds_write_b32 v15, v32 offset:7560
	;; [unrolled: 1-line block ×3, first 2 shown]
	s_waitcnt lgkmcnt(0)
	s_barrier
	ds_read_b32 v48, v86
	ds_read_b32 v49, v85
	;; [unrolled: 1-line block ×10, first 2 shown]
	ds_read2_b32 v[30:31], v57 offset0:42 offset1:123
	ds_read2_b32 v[26:27], v59 offset0:84 offset1:165
	;; [unrolled: 1-line block ×10, first 2 shown]
	s_waitcnt lgkmcnt(0)
	s_barrier
	ds_write_b32 v60, v18
	ds_write_b32 v60, v19 offset:1080
	ds_write_b32 v60, v111 offset:2160
	ds_write_b32 v86, v25
	ds_write_b32 v86, v115 offset:1080
	ds_write_b32 v86, v101 offset:2160
	v_add_f32_e32 v19, v54, v105
	v_add_f32_e32 v18, v102, v54
	v_fmac_f32_e32 v102, -0.5, v19
	v_sub_f32_e32 v19, v53, v103
	v_mov_b32_e32 v25, v102
	v_add_f32_e32 v18, v18, v105
	v_fmac_f32_e32 v25, 0xbf5db3d7, v19
	v_fmac_f32_e32 v102, 0x3f5db3d7, v19
	v_add_f32_e32 v19, v104, v106
	ds_write_b32 v85, v18
	ds_write_b32 v85, v25 offset:1080
	ds_write_b32 v85, v102 offset:2160
	v_add_f32_e32 v18, v112, v104
	v_fmac_f32_e32 v112, -0.5, v19
	v_add_f32_e32 v18, v18, v106
	v_sub_f32_e32 v19, v116, v117
	v_mov_b32_e32 v25, v112
	v_fmac_f32_e32 v25, 0xbf5db3d7, v19
	v_fmac_f32_e32 v112, 0x3f5db3d7, v19
	ds_write_b32 v22, v18
	ds_write_b32 v22, v25 offset:1080
	ds_write_b32 v22, v112 offset:2160
	v_add_f32_e32 v18, v113, v107
	v_add_f32_e32 v19, v114, v108
	;; [unrolled: 1-line block ×4, first 2 shown]
	ds_write2_b32 v21, v18, v19 offset0:96 offset1:177
	v_add_f32_e32 v19, v108, v52
	v_add_f32_e32 v18, v107, v109
	v_fmac_f32_e32 v114, -0.5, v19
	v_fmac_f32_e32 v113, -0.5, v18
	v_sub_f32_e32 v19, v124, v125
	v_mov_b32_e32 v22, v114
	v_sub_f32_e32 v18, v118, v123
	v_mov_b32_e32 v21, v113
	v_fmac_f32_e32 v22, 0xbf5db3d7, v19
	v_fmac_f32_e32 v114, 0x3f5db3d7, v19
	v_add_f32_e32 v19, v88, v90
	v_fmac_f32_e32 v21, 0xbf5db3d7, v18
	v_fmac_f32_e32 v113, 0x3f5db3d7, v18
	v_add_f32_e32 v18, v126, v88
	v_fmac_f32_e32 v126, -0.5, v19
	ds_write2_b32 v24, v21, v22 offset0:110 offset1:191
	v_add_f32_e32 v18, v18, v90
	v_sub_f32_e32 v19, v110, v87
	v_mov_b32_e32 v21, v126
	ds_write2_b32 v23, v113, v114 offset0:124 offset1:205
	v_fmac_f32_e32 v21, 0xbf5db3d7, v19
	v_fmac_f32_e32 v126, 0x3f5db3d7, v19
	ds_write_b32 v4, v18
	ds_write_b32 v4, v21 offset:1080
	ds_write_b32 v4, v126 offset:2160
	v_add_f32_e32 v18, v92, v94
	v_add_f32_e32 v4, v127, v92
	v_fmac_f32_e32 v127, -0.5, v18
	v_sub_f32_e32 v18, v89, v91
	v_mov_b32_e32 v19, v127
	v_add_f32_e32 v21, v96, v98
	v_fmac_f32_e32 v19, 0xbf5db3d7, v18
	v_fmac_f32_e32 v127, 0x3f5db3d7, v18
	v_add_f32_e32 v18, v128, v96
	v_fmac_f32_e32 v128, -0.5, v21
	v_sub_f32_e32 v21, v93, v95
	v_mov_b32_e32 v22, v128
	v_add_f32_e32 v23, v97, v100
	v_fmac_f32_e32 v22, 0xbf5db3d7, v21
	v_fmac_f32_e32 v128, 0x3f5db3d7, v21
	v_add_f32_e32 v21, v129, v97
	v_fmac_f32_e32 v129, -0.5, v23
	v_add_f32_e32 v4, v4, v94
	v_sub_f32_e32 v23, v29, v99
	v_mov_b32_e32 v24, v129
	s_movk_i32 s0, 0x1000
	v_add_f32_e32 v18, v18, v98
	v_add_f32_e32 v21, v21, v100
	v_fmac_f32_e32 v24, 0xbf5db3d7, v23
	v_fmac_f32_e32 v129, 0x3f5db3d7, v23
	ds_write_b32 v17, v4 offset:6480
	ds_write_b32 v17, v19 offset:7560
	;; [unrolled: 1-line block ×9, first 2 shown]
	s_waitcnt lgkmcnt(0)
	s_barrier
	s_and_saveexec_b64 s[4:5], vcc
	s_cbranch_execz .LBB0_15
; %bb.14:
	v_lshlrev_b32_e32 v4, 1, v66
	v_lshlrev_b64 v[15:16], 3, v[4:5]
	v_mov_b32_e32 v85, s9
	v_add_co_u32_e32 v4, vcc, s8, v15
	v_addc_co_u32_e32 v16, vcc, v85, v16, vcc
	v_add_co_u32_e32 v15, vcc, 0x1000, v4
	v_lshlrev_b32_e32 v4, 1, v71
	v_lshlrev_b64 v[21:22], 3, v[4:5]
	v_addc_co_u32_e32 v16, vcc, 0, v16, vcc
	v_add_co_u32_e32 v4, vcc, s8, v21
	v_addc_co_u32_e32 v19, vcc, v85, v22, vcc
	v_add_co_u32_e32 v21, vcc, s0, v4
	global_load_dwordx4 v[15:18], v[15:16], off offset:2304
	v_addc_co_u32_e32 v22, vcc, 0, v19, vcc
	global_load_dwordx4 v[21:24], v[21:22], off offset:2304
	v_lshlrev_b32_e32 v4, 1, v68
	v_lshlrev_b64 v[52:53], 3, v[4:5]
	v_mul_i32_i24_e32 v86, 0xffffffdc, v67
	v_add_co_u32_e32 v4, vcc, s8, v52
	v_addc_co_u32_e32 v19, vcc, v85, v53, vcc
	v_add_co_u32_e32 v52, vcc, s0, v4
	v_addc_co_u32_e32 v53, vcc, 0, v19, vcc
	global_load_dwordx4 v[52:55], v[52:53], off offset:2304
	v_lshlrev_b32_e32 v4, 1, v64
	v_mul_i32_i24_e32 v87, 0xffffffdc, v70
	ds_read2_b32 v[66:67], v82 offset0:50 offset1:131
	ds_read2_b32 v[70:71], v83 offset0:92 offset1:173
	ds_read_b32 v19, v84
	ds_read_b32 v25, v81
	;; [unrolled: 1-line block ×3, first 2 shown]
	v_lshlrev_b64 v[80:81], 3, v[4:5]
	ds_read_b32 v89, v28
	ds_read_b32 v74, v74
	v_add_co_u32_e32 v4, vcc, s8, v80
	v_addc_co_u32_e32 v29, vcc, v85, v81, vcc
	v_add_co_u32_e32 v80, vcc, s0, v4
	v_addc_co_u32_e32 v81, vcc, 0, v29, vcc
	global_load_dwordx4 v[80:83], v[80:81], off offset:2304
	s_waitcnt vmcnt(3) lgkmcnt(6)
	v_mul_f32_e32 v4, v16, v67
	s_waitcnt lgkmcnt(5)
	v_mul_f32_e32 v29, v18, v71
	v_mul_f32_e32 v64, v15, v67
	;; [unrolled: 1-line block ×3, first 2 shown]
	s_waitcnt vmcnt(2)
	v_mul_f32_e32 v68, v22, v66
	v_mul_f32_e32 v71, v24, v70
	;; [unrolled: 1-line block ×4, first 2 shown]
	v_fma_f32 v4, v11, v15, -v4
	v_fma_f32 v17, v13, v17, -v29
	v_fmac_f32_e32 v64, v11, v16
	v_fmac_f32_e32 v67, v13, v18
	v_fma_f32 v88, v12, v23, -v71
	v_fmac_f32_e32 v66, v10, v22
	v_fmac_f32_e32 v70, v12, v24
	v_add_f32_e32 v12, v4, v17
	v_fma_f32 v29, v10, v21, -v68
	v_sub_f32_e32 v16, v4, v17
	v_add_f32_e32 v10, v64, v67
	v_add_f32_e32 v4, v14, v4
	;; [unrolled: 1-line block ×3, first 2 shown]
	v_fma_f32 v12, -0.5, v12, v14
	s_waitcnt lgkmcnt(4)
	v_add_f32_e32 v11, v64, v19
	v_sub_f32_e32 v18, v64, v67
	v_fma_f32 v13, -0.5, v10, v19
	v_add_f32_e32 v14, v4, v17
	s_waitcnt lgkmcnt(3)
	v_fma_f32 v19, -0.5, v22, v25
	v_mov_b32_e32 v10, v12
	v_add_f32_e32 v4, v29, v88
	v_sub_f32_e32 v21, v29, v88
	v_add_f32_e32 v23, v66, v25
	v_fmac_f32_e32 v12, 0x3f5db3d7, v18
	v_mov_b32_e32 v17, v19
	v_fmac_f32_e32 v10, 0xbf5db3d7, v18
	v_fma_f32 v18, -0.5, v4, v20
	v_lshlrev_b32_e32 v4, 1, v69
	v_fmac_f32_e32 v19, 0xbf5db3d7, v21
	v_fmac_f32_e32 v17, 0x3f5db3d7, v21
	v_add_f32_e32 v21, v70, v23
	v_lshlrev_b64 v[22:23], 3, v[4:5]
	v_add_f32_e32 v15, v67, v11
	v_add_co_u32_e32 v4, vcc, s8, v22
	v_addc_co_u32_e32 v23, vcc, v85, v23, vcc
	v_add_co_u32_e32 v22, vcc, s0, v4
	v_addc_co_u32_e32 v23, vcc, 0, v23, vcc
	v_sub_f32_e32 v24, v66, v70
	global_load_dwordx4 v[66:69], v[22:23], off offset:2304
	ds_read2_b32 v[70:71], v78 offset0:16 offset1:97
	ds_read2_b32 v[78:79], v79 offset0:58 offset1:139
	v_add_f32_e32 v4, v20, v29
	v_add_f32_e32 v20, v4, v88
	v_mov_b32_e32 v11, v13
	s_waitcnt vmcnt(2) lgkmcnt(1)
	v_mul_f32_e32 v4, v53, v71
	v_mul_f32_e32 v71, v52, v71
	v_fma_f32 v64, v39, v52, -v4
	v_fmac_f32_e32 v71, v39, v53
	s_waitcnt lgkmcnt(0)
	v_mul_f32_e32 v39, v54, v79
	v_mul_f32_e32 v4, v55, v79
	v_fmac_f32_e32 v39, v33, v55
	v_fma_f32 v88, v33, v54, -v4
	v_add_f32_e32 v4, v71, v39
	v_fma_f32 v25, -0.5, v4, v84
	v_lshlrev_b32_e32 v4, 1, v65
	v_lshlrev_b64 v[28:29], 3, v[4:5]
	v_fmac_f32_e32 v13, 0xbf5db3d7, v16
	v_fmac_f32_e32 v11, 0x3f5db3d7, v16
	v_mov_b32_e32 v16, v18
	v_add_co_u32_e32 v4, vcc, s8, v28
	v_fmac_f32_e32 v16, 0xbf5db3d7, v24
	v_fmac_f32_e32 v18, 0x3f5db3d7, v24
	v_addc_co_u32_e32 v24, vcc, v85, v29, vcc
	v_add_co_u32_e32 v28, vcc, s0, v4
	v_addc_co_u32_e32 v29, vcc, 0, v24, vcc
	global_load_dwordx4 v[52:55], v[28:29], off offset:2304
	v_add_f32_e32 v4, v71, v84
	v_add_f32_e32 v29, v39, v4
	;; [unrolled: 1-line block ×3, first 2 shown]
	v_sub_f32_e32 v22, v64, v88
	v_mov_b32_e32 v23, v25
	v_fma_f32 v24, -0.5, v4, v46
	v_fmac_f32_e32 v23, 0x3f5db3d7, v22
	v_fmac_f32_e32 v25, 0xbf5db3d7, v22
	v_sub_f32_e32 v4, v71, v39
	v_mov_b32_e32 v22, v24
	v_fmac_f32_e32 v22, 0xbf5db3d7, v4
	v_fmac_f32_e32 v24, 0x3f5db3d7, v4
	v_add_f32_e32 v4, v46, v64
	v_add_f32_e32 v28, v4, v88
	s_waitcnt vmcnt(2)
	v_mul_f32_e32 v4, v81, v70
	v_mul_f32_e32 v65, v80, v70
	;; [unrolled: 1-line block ×3, first 2 shown]
	v_fma_f32 v46, v38, v80, -v4
	v_mul_f32_e32 v4, v83, v78
	v_fmac_f32_e32 v65, v38, v81
	v_fmac_f32_e32 v70, v32, v83
	v_fma_f32 v64, v32, v82, -v4
	v_add_f32_e32 v32, v65, v70
	v_fma_f32 v39, -0.5, v32, v89
	v_sub_f32_e32 v4, v46, v64
	v_mov_b32_e32 v33, v39
	v_fmac_f32_e32 v33, 0x3f5db3d7, v4
	v_fmac_f32_e32 v39, 0xbf5db3d7, v4
	v_lshlrev_b32_e32 v4, 1, v63
	v_lshlrev_b64 v[4:5], 3, v[4:5]
	ds_read_b32 v81, v77
	v_add_co_u32_e32 v4, vcc, s8, v4
	v_addc_co_u32_e32 v5, vcc, v85, v5, vcc
	v_add_co_u32_e32 v4, vcc, s0, v4
	v_addc_co_u32_e32 v5, vcc, 0, v5, vcc
	global_load_dwordx4 v[77:80], v[4:5], off offset:2304
	v_add_f32_e32 v4, v65, v89
	v_add_f32_e32 v5, v70, v4
	v_add_f32_e32 v4, v46, v64
	v_fma_f32 v38, -0.5, v4, v44
	v_sub_f32_e32 v4, v65, v70
	ds_read2_b32 v[70:71], v75 offset0:110 offset1:191
	v_mov_b32_e32 v32, v38
	v_add_co_u32_e32 v8, vcc, s0, v8
	v_fmac_f32_e32 v32, 0xbf5db3d7, v4
	v_fmac_f32_e32 v38, 0x3f5db3d7, v4
	v_add_f32_e32 v4, v44, v46
	s_waitcnt vmcnt(2) lgkmcnt(0)
	v_mul_f32_e32 v44, v67, v71
	v_addc_co_u32_e32 v9, vcc, 0, v9, vcc
	v_add_f32_e32 v4, v4, v64
	v_fma_f32 v82, v43, v66, -v44
	v_mul_f32_e32 v71, v66, v71
	global_load_dwordx4 v[63:66], v[8:9], off offset:2304
	ds_read2_b32 v[75:76], v76 offset0:152 offset1:233
	v_fmac_f32_e32 v71, v43, v67
	v_add_co_u32_e32 v6, vcc, s0, v6
	v_addc_co_u32_e32 v7, vcc, 0, v7, vcc
	s_waitcnt lgkmcnt(0)
	v_mul_f32_e32 v67, v68, v76
	v_fmac_f32_e32 v67, v41, v69
	v_mul_f32_e32 v44, v69, v76
	v_add_f32_e32 v8, v71, v67
	v_fma_f32 v83, v41, v68, -v44
	v_fma_f32 v44, -0.5, v8, v81
	v_sub_f32_e32 v46, v82, v83
	v_mov_b32_e32 v9, v44
	v_add_f32_e32 v8, v71, v81
	v_fmac_f32_e32 v9, 0x3f5db3d7, v46
	v_fmac_f32_e32 v44, 0xbf5db3d7, v46
	v_add_f32_e32 v46, v67, v8
	v_add_f32_e32 v8, v82, v83
	v_fma_f32 v43, -0.5, v8, v45
	v_sub_f32_e32 v41, v71, v67
	v_mov_b32_e32 v8, v43
	v_fmac_f32_e32 v8, 0xbf5db3d7, v41
	v_fmac_f32_e32 v43, 0x3f5db3d7, v41
	v_add_f32_e32 v41, v45, v82
	v_add_f32_e32 v45, v41, v83
	s_waitcnt vmcnt(2)
	v_mul_f32_e32 v41, v53, v70
	v_fma_f32 v71, v42, v52, -v41
	v_mul_f32_e32 v52, v52, v70
	global_load_dwordx4 v[67:70], v[6:7], off offset:2304
	v_fmac_f32_e32 v52, v42, v53
	v_mul_f32_e32 v42, v54, v75
	v_fmac_f32_e32 v42, v40, v55
	v_mul_f32_e32 v41, v55, v75
	v_add_f32_e32 v6, v52, v42
	v_fma_f32 v76, v40, v54, -v41
	v_fma_f32 v7, -0.5, v6, v74
	v_add_f32_e32 v6, v52, v74
	v_add_f32_e32 v74, v42, v6
	;; [unrolled: 1-line block ×3, first 2 shown]
	v_fma_f32 v6, -0.5, v6, v51
	v_sub_f32_e32 v42, v52, v42
	v_mov_b32_e32 v40, v6
	v_add_co_u32_e32 v2, vcc, s0, v2
	v_fmac_f32_e32 v40, 0xbf5db3d7, v42
	v_fmac_f32_e32 v6, 0x3f5db3d7, v42
	v_add_f32_e32 v42, v51, v71
	v_addc_co_u32_e32 v3, vcc, 0, v3, vcc
	v_sub_f32_e32 v81, v71, v76
	ds_read_b32 v55, v73
	v_add_f32_e32 v73, v42, v76
	ds_read2_b32 v[75:76], v61 offset0:76 offset1:157
	ds_read2_b32 v[71:72], v72 offset0:118 offset1:199
	global_load_dwordx4 v[51:54], v[2:3], off offset:2304
	v_mov_b32_e32 v41, v7
	v_fmac_f32_e32 v41, 0x3f5db3d7, v81
	v_fmac_f32_e32 v7, 0xbf5db3d7, v81
	v_add_co_u32_e32 v0, vcc, s12, v0
	s_waitcnt vmcnt(3) lgkmcnt(1)
	v_mul_f32_e32 v2, v78, v76
	v_mul_f32_e32 v76, v77, v76
	v_fma_f32 v42, v37, v77, -v2
	v_fmac_f32_e32 v76, v37, v78
	s_waitcnt lgkmcnt(0)
	v_mul_f32_e32 v37, v79, v72
	v_fmac_f32_e32 v37, v35, v80
	v_mul_f32_e32 v2, v80, v72
	v_add_f32_e32 v3, v76, v37
	v_fma_f32 v81, v35, v79, -v2
	v_fma_f32 v3, -0.5, v3, v55
	v_sub_f32_e32 v2, v42, v81
	v_mov_b32_e32 v61, v3
	v_fmac_f32_e32 v61, 0x3f5db3d7, v2
	v_fmac_f32_e32 v3, 0xbf5db3d7, v2
	v_add_f32_e32 v2, v76, v55
	v_add_f32_e32 v77, v37, v2
	;; [unrolled: 1-line block ×3, first 2 shown]
	v_fma_f32 v2, -0.5, v2, v50
	ds_read_b32 v72, v60
	v_sub_f32_e32 v35, v76, v37
	v_mov_b32_e32 v60, v2
	v_fmac_f32_e32 v60, 0xbf5db3d7, v35
	v_fmac_f32_e32 v2, 0x3f5db3d7, v35
	v_add_f32_e32 v35, v50, v42
	v_add_f32_e32 v76, v35, v81
	s_waitcnt vmcnt(2)
	v_mul_f32_e32 v35, v64, v75
	v_fma_f32 v42, v36, v63, -v35
	v_mul_f32_e32 v35, v66, v71
	v_fma_f32 v78, v34, v65, -v35
	v_add_u32_e32 v35, v56, v87
	ds_read_b32 v55, v35
	v_mul_f32_e32 v56, v63, v75
	v_fmac_f32_e32 v56, v36, v64
	v_mul_f32_e32 v36, v65, v71
	v_fmac_f32_e32 v36, v34, v66
	v_add_f32_e32 v34, v56, v36
	s_waitcnt lgkmcnt(0)
	v_fma_f32 v35, -0.5, v34, v55
	v_sub_f32_e32 v50, v42, v78
	v_mov_b32_e32 v37, v35
	v_add_f32_e32 v34, v56, v55
	v_fmac_f32_e32 v37, 0x3f5db3d7, v50
	v_fmac_f32_e32 v35, 0xbf5db3d7, v50
	v_add_f32_e32 v50, v36, v34
	v_add_f32_e32 v34, v42, v78
	v_fma_f32 v34, -0.5, v34, v49
	v_sub_f32_e32 v63, v56, v36
	v_mov_b32_e32 v36, v34
	v_fmac_f32_e32 v36, 0xbf5db3d7, v63
	v_fmac_f32_e32 v34, 0x3f5db3d7, v63
	ds_read2_b32 v[63:64], v59 offset0:84 offset1:165
	ds_read2_b32 v[55:56], v57 offset0:42 offset1:123
	v_add_f32_e32 v42, v49, v42
	v_add_f32_e32 v49, v42, v78
	s_waitcnt vmcnt(1) lgkmcnt(1)
	v_mul_f32_e32 v57, v70, v64
	v_fma_f32 v66, v27, v69, -v57
	v_add_u32_e32 v57, v58, v86
	s_waitcnt lgkmcnt(0)
	v_mul_f32_e32 v42, v68, v56
	ds_read_b32 v58, v57
	v_fma_f32 v42, v31, v67, -v42
	v_mul_f32_e32 v67, v67, v56
	v_fmac_f32_e32 v67, v31, v68
	v_mul_f32_e32 v31, v69, v64
	v_fmac_f32_e32 v31, v27, v70
	v_add_f32_e32 v27, v67, v31
	s_waitcnt lgkmcnt(0)
	v_fma_f32 v57, -0.5, v27, v58
	v_sub_f32_e32 v65, v42, v66
	v_mov_b32_e32 v59, v57
	v_add_f32_e32 v27, v67, v58
	v_fmac_f32_e32 v59, 0x3f5db3d7, v65
	v_fmac_f32_e32 v57, 0xbf5db3d7, v65
	v_add_f32_e32 v65, v31, v27
	v_add_f32_e32 v27, v42, v66
	v_fma_f32 v56, -0.5, v27, v48
	v_sub_f32_e32 v27, v67, v31
	v_mov_b32_e32 v58, v56
	v_fmac_f32_e32 v58, 0xbf5db3d7, v27
	v_fmac_f32_e32 v56, 0x3f5db3d7, v27
	v_add_f32_e32 v27, v48, v42
	v_add_f32_e32 v64, v27, v66
	s_waitcnt vmcnt(0)
	v_mul_f32_e32 v27, v52, v55
	v_mul_f32_e32 v55, v51, v55
	v_fma_f32 v66, v30, v51, -v27
	v_fmac_f32_e32 v55, v30, v52
	v_mul_f32_e32 v30, v53, v63
	v_mul_f32_e32 v27, v54, v63
	v_fmac_f32_e32 v30, v26, v54
	v_mad_u64_u32 v[51:52], s[0:1], s2, v62, 0
	v_fma_f32 v67, v26, v53, -v27
	v_add_f32_e32 v26, v55, v30
	v_fma_f32 v27, -0.5, v26, v72
	v_add_f32_e32 v26, v55, v72
	v_sub_f32_e32 v42, v66, v67
	v_mov_b32_e32 v31, v27
	v_add_f32_e32 v48, v30, v26
	v_add_f32_e32 v26, v66, v67
	v_fmac_f32_e32 v31, 0x3f5db3d7, v42
	v_fmac_f32_e32 v27, 0xbf5db3d7, v42
	v_fma_f32 v26, -0.5, v26, v47
	v_mov_b32_e32 v42, v52
	v_sub_f32_e32 v54, v55, v30
	v_mov_b32_e32 v30, v26
	v_mad_u64_u32 v[52:53], s[0:1], s3, v62, v[42:43]
	v_add_u32_e32 v55, 0x32a, v62
	v_fmac_f32_e32 v30, 0xbf5db3d7, v54
	v_fmac_f32_e32 v26, 0x3f5db3d7, v54
	v_mad_u64_u32 v[53:54], s[0:1], s2, v55, 0
	v_add_f32_e32 v42, v47, v66
	v_add_f32_e32 v47, v42, v67
	v_mov_b32_e32 v42, s13
	v_addc_co_u32_e32 v1, vcc, v42, v1, vcc
	v_mov_b32_e32 v42, v54
	v_lshlrev_b64 v[51:52], 3, v[51:52]
	v_mad_u64_u32 v[54:55], s[0:1], s3, v55, v[42:43]
	v_add_co_u32_e32 v51, vcc, v0, v51
	v_addc_co_u32_e32 v52, vcc, v1, v52, vcc
	v_add_u32_e32 v42, 0x654, v62
	global_store_dwordx2 v[51:52], v[47:48], off
	v_lshlrev_b64 v[47:48], 3, v[53:54]
	v_mad_u64_u32 v[51:52], s[0:1], s2, v42, 0
	v_add_co_u32_e32 v47, vcc, v0, v47
	v_addc_co_u32_e32 v48, vcc, v1, v48, vcc
	global_store_dwordx2 v[47:48], v[26:27], off
	v_mov_b32_e32 v26, v52
	v_mad_u64_u32 v[26:27], s[0:1], s3, v42, v[26:27]
	v_add_u32_e32 v53, 0x51, v62
	v_mad_u64_u32 v[47:48], s[0:1], s2, v53, 0
	v_mov_b32_e32 v52, v26
	v_lshlrev_b64 v[26:27], 3, v[51:52]
	v_mov_b32_e32 v42, v48
	v_add_co_u32_e32 v26, vcc, v0, v26
	v_mad_u64_u32 v[51:52], s[4:5], s3, v53, v[42:43]
	v_addc_co_u32_e32 v27, vcc, v1, v27, vcc
	v_add_u32_e32 v42, 0x37b, v62
	global_store_dwordx2 v[26:27], v[30:31], off
	v_mad_u64_u32 v[30:31], s[4:5], s2, v42, 0
	v_mov_b32_e32 v48, v51
	v_lshlrev_b64 v[26:27], 3, v[47:48]
	v_mad_u64_u32 v[47:48], s[4:5], s3, v42, v[31:32]
	v_add_u32_e32 v42, 0x6a5, v62
	v_mad_u64_u32 v[51:52], s[4:5], s2, v42, 0
	v_add_co_u32_e32 v26, vcc, v0, v26
	v_addc_co_u32_e32 v27, vcc, v1, v27, vcc
	v_mov_b32_e32 v31, v47
	global_store_dwordx2 v[26:27], v[64:65], off
	v_lshlrev_b64 v[26:27], 3, v[30:31]
	v_mov_b32_e32 v30, v52
	v_mad_u64_u32 v[30:31], s[4:5], s3, v42, v[30:31]
	v_add_u32_e32 v42, 0xa2, v62
	v_add_co_u32_e32 v26, vcc, v0, v26
	v_mov_b32_e32 v52, v30
	v_mad_u64_u32 v[30:31], s[4:5], s2, v42, 0
	v_addc_co_u32_e32 v27, vcc, v1, v27, vcc
	v_mad_u64_u32 v[47:48], s[4:5], s3, v42, v[31:32]
	v_add_u32_e32 v42, 0x3cc, v62
	global_store_dwordx2 v[26:27], v[56:57], off
	v_lshlrev_b64 v[26:27], 3, v[51:52]
	v_mad_u64_u32 v[51:52], s[4:5], s2, v42, 0
	v_add_co_u32_e32 v26, vcc, v0, v26
	v_addc_co_u32_e32 v27, vcc, v1, v27, vcc
	v_mov_b32_e32 v31, v47
	global_store_dwordx2 v[26:27], v[58:59], off
	v_lshlrev_b64 v[26:27], 3, v[30:31]
	v_mov_b32_e32 v30, v52
	v_mad_u64_u32 v[30:31], s[4:5], s3, v42, v[30:31]
	v_add_u32_e32 v42, 0x6f6, v62
	v_add_co_u32_e32 v26, vcc, v0, v26
	v_mov_b32_e32 v52, v30
	v_mad_u64_u32 v[30:31], s[4:5], s2, v42, 0
	v_addc_co_u32_e32 v27, vcc, v1, v27, vcc
	v_mad_u64_u32 v[47:48], s[4:5], s3, v42, v[31:32]
	v_add_u32_e32 v42, 0xf3, v62
	global_store_dwordx2 v[26:27], v[49:50], off
	v_lshlrev_b64 v[26:27], 3, v[51:52]
	v_mad_u64_u32 v[48:49], s[4:5], s2, v42, 0
	v_add_co_u32_e32 v26, vcc, v0, v26
	v_addc_co_u32_e32 v27, vcc, v1, v27, vcc
	v_mov_b32_e32 v31, v47
	global_store_dwordx2 v[26:27], v[34:35], off
	v_lshlrev_b64 v[26:27], 3, v[30:31]
	v_mov_b32_e32 v30, v49
	v_mad_u64_u32 v[30:31], s[4:5], s3, v42, v[30:31]
	v_add_u32_e32 v34, 0x41d, v62
	v_add_co_u32_e32 v26, vcc, v0, v26
	v_mov_b32_e32 v49, v30
	v_mad_u64_u32 v[30:31], s[4:5], s2, v34, 0
	v_addc_co_u32_e32 v27, vcc, v1, v27, vcc
	global_store_dwordx2 v[26:27], v[36:37], off
	v_mad_u64_u32 v[34:35], s[4:5], s3, v34, v[31:32]
	v_add_u32_e32 v37, 0x747, v62
	v_lshlrev_b64 v[26:27], 3, v[48:49]
	v_mad_u64_u32 v[35:36], s[4:5], s2, v37, 0
	v_add_co_u32_e32 v26, vcc, v0, v26
	v_addc_co_u32_e32 v27, vcc, v1, v27, vcc
	v_mov_b32_e32 v31, v34
	global_store_dwordx2 v[26:27], v[76:77], off
	v_lshlrev_b64 v[26:27], 3, v[30:31]
	v_mov_b32_e32 v30, v36
	v_mad_u64_u32 v[30:31], s[4:5], s3, v37, v[30:31]
	v_add_co_u32_e32 v26, vcc, v0, v26
	v_addc_co_u32_e32 v27, vcc, v1, v27, vcc
	v_mov_b32_e32 v36, v30
	v_add_u32_e32 v30, 0x144, v62
	global_store_dwordx2 v[26:27], v[2:3], off
	v_mad_u64_u32 v[26:27], s[4:5], s2, v30, 0
	v_lshlrev_b64 v[2:3], 3, v[35:36]
	s_mov_b32 s1, 0x50e89cc3
	v_mad_u64_u32 v[30:31], s[4:5], s3, v30, v[27:28]
	v_add_u32_e32 v31, 0x46e, v62
	v_mad_u64_u32 v[34:35], s[4:5], s2, v31, 0
	v_add_co_u32_e32 v2, vcc, v0, v2
	v_addc_co_u32_e32 v3, vcc, v1, v3, vcc
	v_mov_b32_e32 v27, v30
	global_store_dwordx2 v[2:3], v[60:61], off
	v_lshlrev_b64 v[2:3], 3, v[26:27]
	v_mov_b32_e32 v26, v35
	v_mad_u64_u32 v[26:27], s[4:5], s3, v31, v[26:27]
	v_add_u32_e32 v30, 0x798, v62
	v_add_co_u32_e32 v2, vcc, v0, v2
	v_mov_b32_e32 v35, v26
	v_mad_u64_u32 v[26:27], s[4:5], s2, v30, 0
	v_addc_co_u32_e32 v3, vcc, v1, v3, vcc
	v_mad_u64_u32 v[30:31], s[4:5], s3, v30, v[27:28]
	v_add_u32_e32 v31, 0x195, v62
	global_store_dwordx2 v[2:3], v[73:74], off
	v_lshlrev_b64 v[2:3], 3, v[34:35]
	v_mul_hi_u32 v34, v31, s1
	v_add_co_u32_e32 v2, vcc, v0, v2
	v_addc_co_u32_e32 v3, vcc, v1, v3, vcc
	s_movk_i32 s0, 0x654
	global_store_dwordx2 v[2:3], v[6:7], off
	v_lshrrev_b32_e32 v6, 8, v34
	v_mad_u32_u24 v34, v6, s0, v31
	v_mad_u64_u32 v[6:7], s[4:5], s2, v34, 0
	v_mov_b32_e32 v27, v30
	v_lshlrev_b64 v[2:3], 3, v[26:27]
	v_mad_u64_u32 v[26:27], s[4:5], s3, v34, v[7:8]
	v_add_u32_e32 v27, 0x32a, v34
	v_mad_u64_u32 v[30:31], s[4:5], s2, v27, 0
	v_add_co_u32_e32 v2, vcc, v0, v2
	v_addc_co_u32_e32 v3, vcc, v1, v3, vcc
	v_mov_b32_e32 v7, v26
	global_store_dwordx2 v[2:3], v[40:41], off
	v_lshlrev_b64 v[2:3], 3, v[6:7]
	v_mov_b32_e32 v6, v31
	v_mad_u64_u32 v[6:7], s[4:5], s3, v27, v[6:7]
	v_add_co_u32_e32 v2, vcc, v0, v2
	v_addc_co_u32_e32 v3, vcc, v1, v3, vcc
	v_mov_b32_e32 v31, v6
	global_store_dwordx2 v[2:3], v[45:46], off
	v_lshlrev_b64 v[2:3], 3, v[30:31]
	v_add_u32_e32 v26, 0x654, v34
	v_add_u32_e32 v30, 0x1e6, v62
	v_mad_u64_u32 v[6:7], s[4:5], s2, v26, 0
	v_mul_hi_u32 v31, v30, s1
	v_add_co_u32_e32 v2, vcc, v0, v2
	v_mad_u64_u32 v[26:27], s[4:5], s3, v26, v[7:8]
	v_lshrrev_b32_e32 v7, 8, v31
	v_mad_u32_u24 v27, v7, s0, v30
	v_mad_u64_u32 v[30:31], s[4:5], s2, v27, 0
	v_addc_co_u32_e32 v3, vcc, v1, v3, vcc
	v_mov_b32_e32 v7, v26
	global_store_dwordx2 v[2:3], v[43:44], off
	v_lshlrev_b64 v[2:3], 3, v[6:7]
	v_mov_b32_e32 v6, v31
	v_mad_u64_u32 v[6:7], s[4:5], s3, v27, v[6:7]
	v_add_co_u32_e32 v2, vcc, v0, v2
	v_addc_co_u32_e32 v3, vcc, v1, v3, vcc
	global_store_dwordx2 v[2:3], v[8:9], off
	v_add_u32_e32 v8, 0x32a, v27
	v_mov_b32_e32 v31, v6
	v_mad_u64_u32 v[6:7], s[4:5], s2, v8, 0
	v_add_u32_e32 v26, 0x654, v27
	v_lshlrev_b64 v[2:3], 3, v[30:31]
	v_mad_u64_u32 v[7:8], s[4:5], s3, v8, v[7:8]
	v_mad_u64_u32 v[8:9], s[4:5], s2, v26, 0
	v_add_co_u32_e32 v2, vcc, v0, v2
	v_addc_co_u32_e32 v3, vcc, v1, v3, vcc
	global_store_dwordx2 v[2:3], v[4:5], off
	v_mov_b32_e32 v4, v9
	v_mad_u64_u32 v[4:5], s[4:5], s3, v26, v[4:5]
	v_lshlrev_b64 v[2:3], 3, v[6:7]
	v_add_u32_e32 v6, 0x237, v62
	v_mov_b32_e32 v9, v4
	v_mad_u64_u32 v[4:5], s[4:5], s2, v6, 0
	v_add_co_u32_e32 v2, vcc, v0, v2
	v_addc_co_u32_e32 v3, vcc, v1, v3, vcc
	global_store_dwordx2 v[2:3], v[38:39], off
	v_lshlrev_b64 v[2:3], 3, v[8:9]
	v_mad_u64_u32 v[5:6], s[4:5], s3, v6, v[5:6]
	v_add_u32_e32 v8, 0x561, v62
	v_mad_u64_u32 v[6:7], s[4:5], s2, v8, 0
	v_add_co_u32_e32 v2, vcc, v0, v2
	v_addc_co_u32_e32 v3, vcc, v1, v3, vcc
	global_store_dwordx2 v[2:3], v[32:33], off
	v_lshlrev_b64 v[2:3], 3, v[4:5]
	v_mov_b32_e32 v4, v7
	v_mad_u64_u32 v[4:5], s[4:5], s3, v8, v[4:5]
	v_add_co_u32_e32 v2, vcc, v0, v2
	v_addc_co_u32_e32 v3, vcc, v1, v3, vcc
	v_mov_b32_e32 v7, v4
	global_store_dwordx2 v[2:3], v[28:29], off
	v_lshlrev_b64 v[2:3], 3, v[6:7]
	v_add_u32_e32 v6, 0x88b, v62
	v_mad_u64_u32 v[4:5], s[4:5], s2, v6, 0
	v_add_co_u32_e32 v2, vcc, v0, v2
	v_mad_u64_u32 v[5:6], s[4:5], s3, v6, v[5:6]
	v_add_u32_e32 v6, 0x288, v62
	v_mul_hi_u32 v7, v6, s1
	v_addc_co_u32_e32 v3, vcc, v1, v3, vcc
	global_store_dwordx2 v[2:3], v[24:25], off
	v_lshlrev_b64 v[2:3], 3, v[4:5]
	v_lshrrev_b32_e32 v4, 8, v7
	v_mad_u32_u24 v8, v4, s0, v6
	v_mad_u64_u32 v[4:5], s[4:5], s2, v8, 0
	v_add_u32_e32 v9, 0x32a, v8
	v_add_co_u32_e32 v2, vcc, v0, v2
	v_mad_u64_u32 v[5:6], s[4:5], s3, v8, v[5:6]
	v_mad_u64_u32 v[6:7], s[4:5], s2, v9, 0
	v_addc_co_u32_e32 v3, vcc, v1, v3, vcc
	global_store_dwordx2 v[2:3], v[22:23], off
	v_lshlrev_b64 v[2:3], 3, v[4:5]
	v_mov_b32_e32 v4, v7
	v_mad_u64_u32 v[4:5], s[4:5], s3, v9, v[4:5]
	v_add_co_u32_e32 v2, vcc, v0, v2
	v_addc_co_u32_e32 v3, vcc, v1, v3, vcc
	v_mov_b32_e32 v7, v4
	global_store_dwordx2 v[2:3], v[20:21], off
	v_lshlrev_b64 v[2:3], 3, v[6:7]
	v_add_u32_e32 v6, 0x654, v8
	v_mad_u64_u32 v[4:5], s[4:5], s2, v6, 0
	v_add_u32_e32 v7, 0x2d9, v62
	v_mul_hi_u32 v8, v7, s1
	v_mad_u64_u32 v[5:6], s[4:5], s3, v6, v[5:6]
	v_add_co_u32_e32 v2, vcc, v0, v2
	v_lshrrev_b32_e32 v6, 8, v8
	v_mad_u32_u24 v8, v6, s0, v7
	v_mad_u64_u32 v[6:7], s[0:1], s2, v8, 0
	v_addc_co_u32_e32 v3, vcc, v1, v3, vcc
	global_store_dwordx2 v[2:3], v[18:19], off
	v_lshlrev_b64 v[2:3], 3, v[4:5]
	v_mov_b32_e32 v4, v7
	v_mad_u64_u32 v[4:5], s[0:1], s3, v8, v[4:5]
	v_add_co_u32_e32 v2, vcc, v0, v2
	v_addc_co_u32_e32 v3, vcc, v1, v3, vcc
	v_mov_b32_e32 v7, v4
	global_store_dwordx2 v[2:3], v[16:17], off
	v_lshlrev_b64 v[2:3], 3, v[6:7]
	v_add_u32_e32 v6, 0x32a, v8
	v_mad_u64_u32 v[4:5], s[0:1], s2, v6, 0
	v_add_u32_e32 v8, 0x654, v8
	v_add_co_u32_e32 v2, vcc, v0, v2
	v_mad_u64_u32 v[5:6], s[0:1], s3, v6, v[5:6]
	v_mad_u64_u32 v[6:7], s[0:1], s2, v8, 0
	v_addc_co_u32_e32 v3, vcc, v1, v3, vcc
	global_store_dwordx2 v[2:3], v[14:15], off
	v_lshlrev_b64 v[2:3], 3, v[4:5]
	v_mov_b32_e32 v4, v7
	v_mad_u64_u32 v[4:5], s[0:1], s3, v8, v[4:5]
	v_add_co_u32_e32 v2, vcc, v0, v2
	v_addc_co_u32_e32 v3, vcc, v1, v3, vcc
	v_mov_b32_e32 v7, v4
	global_store_dwordx2 v[2:3], v[12:13], off
	v_lshlrev_b64 v[2:3], 3, v[6:7]
	v_add_co_u32_e32 v0, vcc, v0, v2
	v_addc_co_u32_e32 v1, vcc, v1, v3, vcc
	global_store_dwordx2 v[0:1], v[10:11], off
.LBB0_15:
	s_endpgm
	.section	.rodata,"a",@progbits
	.p2align	6, 0x0
	.amdhsa_kernel fft_rtc_fwd_len2430_factors_10_3_3_3_3_3_wgs_81_tpt_81_halfLds_sp_ip_CI_sbrr_dirReg
		.amdhsa_group_segment_fixed_size 0
		.amdhsa_private_segment_fixed_size 0
		.amdhsa_kernarg_size 88
		.amdhsa_user_sgpr_count 6
		.amdhsa_user_sgpr_private_segment_buffer 1
		.amdhsa_user_sgpr_dispatch_ptr 0
		.amdhsa_user_sgpr_queue_ptr 0
		.amdhsa_user_sgpr_kernarg_segment_ptr 1
		.amdhsa_user_sgpr_dispatch_id 0
		.amdhsa_user_sgpr_flat_scratch_init 0
		.amdhsa_user_sgpr_private_segment_size 0
		.amdhsa_uses_dynamic_stack 0
		.amdhsa_system_sgpr_private_segment_wavefront_offset 0
		.amdhsa_system_sgpr_workgroup_id_x 1
		.amdhsa_system_sgpr_workgroup_id_y 0
		.amdhsa_system_sgpr_workgroup_id_z 0
		.amdhsa_system_sgpr_workgroup_info 0
		.amdhsa_system_vgpr_workitem_id 0
		.amdhsa_next_free_vgpr 132
		.amdhsa_next_free_sgpr 24
		.amdhsa_reserve_vcc 1
		.amdhsa_reserve_flat_scratch 0
		.amdhsa_float_round_mode_32 0
		.amdhsa_float_round_mode_16_64 0
		.amdhsa_float_denorm_mode_32 3
		.amdhsa_float_denorm_mode_16_64 3
		.amdhsa_dx10_clamp 1
		.amdhsa_ieee_mode 1
		.amdhsa_fp16_overflow 0
		.amdhsa_exception_fp_ieee_invalid_op 0
		.amdhsa_exception_fp_denorm_src 0
		.amdhsa_exception_fp_ieee_div_zero 0
		.amdhsa_exception_fp_ieee_overflow 0
		.amdhsa_exception_fp_ieee_underflow 0
		.amdhsa_exception_fp_ieee_inexact 0
		.amdhsa_exception_int_div_zero 0
	.end_amdhsa_kernel
	.text
.Lfunc_end0:
	.size	fft_rtc_fwd_len2430_factors_10_3_3_3_3_3_wgs_81_tpt_81_halfLds_sp_ip_CI_sbrr_dirReg, .Lfunc_end0-fft_rtc_fwd_len2430_factors_10_3_3_3_3_3_wgs_81_tpt_81_halfLds_sp_ip_CI_sbrr_dirReg
                                        ; -- End function
	.section	.AMDGPU.csdata,"",@progbits
; Kernel info:
; codeLenInByte = 19952
; NumSgprs: 28
; NumVgprs: 132
; ScratchSize: 0
; MemoryBound: 0
; FloatMode: 240
; IeeeMode: 1
; LDSByteSize: 0 bytes/workgroup (compile time only)
; SGPRBlocks: 3
; VGPRBlocks: 32
; NumSGPRsForWavesPerEU: 28
; NumVGPRsForWavesPerEU: 132
; Occupancy: 1
; WaveLimiterHint : 1
; COMPUTE_PGM_RSRC2:SCRATCH_EN: 0
; COMPUTE_PGM_RSRC2:USER_SGPR: 6
; COMPUTE_PGM_RSRC2:TRAP_HANDLER: 0
; COMPUTE_PGM_RSRC2:TGID_X_EN: 1
; COMPUTE_PGM_RSRC2:TGID_Y_EN: 0
; COMPUTE_PGM_RSRC2:TGID_Z_EN: 0
; COMPUTE_PGM_RSRC2:TIDIG_COMP_CNT: 0
	.type	__hip_cuid_73b4d16737cd02d,@object ; @__hip_cuid_73b4d16737cd02d
	.section	.bss,"aw",@nobits
	.globl	__hip_cuid_73b4d16737cd02d
__hip_cuid_73b4d16737cd02d:
	.byte	0                               ; 0x0
	.size	__hip_cuid_73b4d16737cd02d, 1

	.ident	"AMD clang version 19.0.0git (https://github.com/RadeonOpenCompute/llvm-project roc-6.4.0 25133 c7fe45cf4b819c5991fe208aaa96edf142730f1d)"
	.section	".note.GNU-stack","",@progbits
	.addrsig
	.addrsig_sym __hip_cuid_73b4d16737cd02d
	.amdgpu_metadata
---
amdhsa.kernels:
  - .args:
      - .actual_access:  read_only
        .address_space:  global
        .offset:         0
        .size:           8
        .value_kind:     global_buffer
      - .offset:         8
        .size:           8
        .value_kind:     by_value
      - .actual_access:  read_only
        .address_space:  global
        .offset:         16
        .size:           8
        .value_kind:     global_buffer
      - .actual_access:  read_only
        .address_space:  global
        .offset:         24
        .size:           8
        .value_kind:     global_buffer
      - .offset:         32
        .size:           8
        .value_kind:     by_value
      - .actual_access:  read_only
        .address_space:  global
        .offset:         40
        .size:           8
        .value_kind:     global_buffer
      - .actual_access:  read_only
        .address_space:  global
        .offset:         48
        .size:           8
        .value_kind:     global_buffer
      - .offset:         56
        .size:           4
        .value_kind:     by_value
      - .actual_access:  read_only
        .address_space:  global
        .offset:         64
        .size:           8
        .value_kind:     global_buffer
      - .actual_access:  read_only
        .address_space:  global
        .offset:         72
        .size:           8
        .value_kind:     global_buffer
      - .address_space:  global
        .offset:         80
        .size:           8
        .value_kind:     global_buffer
    .group_segment_fixed_size: 0
    .kernarg_segment_align: 8
    .kernarg_segment_size: 88
    .language:       OpenCL C
    .language_version:
      - 2
      - 0
    .max_flat_workgroup_size: 81
    .name:           fft_rtc_fwd_len2430_factors_10_3_3_3_3_3_wgs_81_tpt_81_halfLds_sp_ip_CI_sbrr_dirReg
    .private_segment_fixed_size: 0
    .sgpr_count:     28
    .sgpr_spill_count: 0
    .symbol:         fft_rtc_fwd_len2430_factors_10_3_3_3_3_3_wgs_81_tpt_81_halfLds_sp_ip_CI_sbrr_dirReg.kd
    .uniform_work_group_size: 1
    .uses_dynamic_stack: false
    .vgpr_count:     132
    .vgpr_spill_count: 0
    .wavefront_size: 64
amdhsa.target:   amdgcn-amd-amdhsa--gfx906
amdhsa.version:
  - 1
  - 2
...

	.end_amdgpu_metadata
